;; amdgpu-corpus repo=ROCm/rocFFT kind=compiled arch=gfx1201 opt=O3
	.text
	.amdgcn_target "amdgcn-amd-amdhsa--gfx1201"
	.amdhsa_code_object_version 6
	.protected	bluestein_single_fwd_len440_dim1_dp_op_CI_CI ; -- Begin function bluestein_single_fwd_len440_dim1_dp_op_CI_CI
	.globl	bluestein_single_fwd_len440_dim1_dp_op_CI_CI
	.p2align	8
	.type	bluestein_single_fwd_len440_dim1_dp_op_CI_CI,@function
bluestein_single_fwd_len440_dim1_dp_op_CI_CI: ; @bluestein_single_fwd_len440_dim1_dp_op_CI_CI
; %bb.0:
	s_load_b128 s[8:11], s[0:1], 0x28
	v_mul_u32_u24_e32 v1, 0x4a8, v0
	s_mov_b32 s2, exec_lo
	v_mov_b32_e32 v113, 0
	s_delay_alu instid0(VALU_DEP_2) | instskip(NEXT) | instid1(VALU_DEP_1)
	v_lshrrev_b32_e32 v1, 16, v1
	v_add_nc_u32_e32 v112, ttmp9, v1
	s_wait_kmcnt 0x0
	s_delay_alu instid0(VALU_DEP_1)
	v_cmpx_gt_u64_e64 s[8:9], v[112:113]
	s_cbranch_execz .LBB0_23
; %bb.1:
	v_mul_lo_u16 v1, v1, 55
	s_clause 0x1
	s_load_b64 s[12:13], s[0:1], 0x0
	s_load_b64 s[8:9], s[0:1], 0x38
	s_delay_alu instid0(VALU_DEP_1) | instskip(NEXT) | instid1(VALU_DEP_1)
	v_sub_nc_u16 v0, v0, v1
	v_and_b32_e32 v195, 0xffff, v0
	v_cmp_gt_u16_e32 vcc_lo, 40, v0
	s_delay_alu instid0(VALU_DEP_2)
	v_lshlrev_b32_e32 v194, 4, v195
	v_or_b32_e32 v193, 0x140, v195
	s_and_saveexec_b32 s3, vcc_lo
	s_cbranch_execz .LBB0_3
; %bb.2:
	s_load_b64 s[4:5], s[0:1], 0x18
	s_wait_kmcnt 0x0
	s_load_b128 s[4:7], s[4:5], 0x0
	s_wait_kmcnt 0x0
	v_mad_co_u64_u32 v[0:1], null, s6, v112, 0
	v_mad_co_u64_u32 v[2:3], null, s4, v195, 0
	;; [unrolled: 1-line block ×3, first 2 shown]
	s_delay_alu instid0(VALU_DEP_2) | instskip(SKIP_1) | instid1(VALU_DEP_1)
	v_mad_co_u64_u32 v[4:5], null, s7, v112, v[1:2]
	s_mul_u64 s[6:7], s[4:5], 0x280
	v_mad_co_u64_u32 v[5:6], null, s5, v195, v[3:4]
	v_mov_b32_e32 v1, v4
	s_delay_alu instid0(VALU_DEP_1) | instskip(NEXT) | instid1(VALU_DEP_3)
	v_lshlrev_b64_e32 v[0:1], 4, v[0:1]
	v_mov_b32_e32 v3, v5
	s_delay_alu instid0(VALU_DEP_2) | instskip(NEXT) | instid1(VALU_DEP_2)
	v_add_co_u32 v18, s2, s10, v0
	v_lshlrev_b64_e32 v[2:3], 4, v[2:3]
	s_delay_alu instid0(VALU_DEP_4) | instskip(SKIP_1) | instid1(VALU_DEP_3)
	v_add_co_ci_u32_e64 v19, s2, s11, v1, s2
	v_mov_b32_e32 v0, v9
	v_add_co_u32 v32, s2, v18, v2
	s_wait_alu 0xf1ff
	s_delay_alu instid0(VALU_DEP_3) | instskip(NEXT) | instid1(VALU_DEP_3)
	v_add_co_ci_u32_e64 v33, s2, v19, v3, s2
	v_mad_co_u64_u32 v[0:1], null, s5, v193, v[0:1]
	s_wait_alu 0xfffe
	v_add_co_u32 v36, s2, v32, s6
	s_wait_alu 0xf1ff
	v_add_co_ci_u32_e64 v37, s2, s7, v33, s2
	s_delay_alu instid0(VALU_DEP_2) | instskip(SKIP_1) | instid1(VALU_DEP_2)
	v_add_co_u32 v48, s2, v36, s6
	s_wait_alu 0xf1ff
	v_add_co_ci_u32_e64 v49, s2, s7, v37, s2
	v_mov_b32_e32 v9, v0
	s_delay_alu instid0(VALU_DEP_3) | instskip(SKIP_1) | instid1(VALU_DEP_3)
	v_add_co_u32 v52, s2, v48, s6
	s_wait_alu 0xf1ff
	v_add_co_ci_u32_e64 v53, s2, s7, v49, s2
	s_delay_alu instid0(VALU_DEP_3) | instskip(NEXT) | instid1(VALU_DEP_3)
	v_lshlrev_b64_e32 v[16:17], 4, v[8:9]
	v_add_co_u32 v56, s2, v52, s6
	s_wait_alu 0xf1ff
	s_delay_alu instid0(VALU_DEP_3)
	v_add_co_ci_u32_e64 v57, s2, s7, v53, s2
	s_clause 0x1
	global_load_b128 v[0:3], v194, s[12:13]
	global_load_b128 v[4:7], v194, s[12:13] offset:640
	v_add_co_u32 v60, s2, v56, s6
	s_wait_alu 0xf1ff
	v_add_co_ci_u32_e64 v61, s2, s7, v57, s2
	s_clause 0x1
	global_load_b128 v[8:11], v194, s[12:13] offset:1280
	global_load_b128 v[12:15], v194, s[12:13] offset:1920
	v_add_co_u32 v64, s2, v60, s6
	s_wait_alu 0xf1ff
	v_add_co_ci_u32_e64 v65, s2, s7, v61, s2
	s_delay_alu instid0(VALU_DEP_2) | instskip(SKIP_1) | instid1(VALU_DEP_2)
	v_add_co_u32 v68, s2, v64, s6
	s_wait_alu 0xf1ff
	v_add_co_ci_u32_e64 v69, s2, s7, v65, s2
	v_add_co_u32 v28, s2, v18, v16
	s_wait_alu 0xf1ff
	v_add_co_ci_u32_e64 v29, s2, v19, v17, s2
	s_delay_alu instid0(VALU_DEP_3)
	v_mad_co_u64_u32 v[76:77], null, 0x500, s4, v[68:69]
	s_clause 0x2
	global_load_b128 v[16:19], v194, s[12:13] offset:2560
	global_load_b128 v[20:23], v194, s[12:13] offset:3200
	;; [unrolled: 1-line block ×3, first 2 shown]
	s_clause 0x1
	global_load_b128 v[28:31], v[28:29], off
	global_load_b128 v[32:35], v[32:33], off
	v_mov_b32_e32 v38, v77
	v_add_co_u32 v84, s2, v76, s6
	s_delay_alu instid0(VALU_DEP_2)
	v_mad_co_u64_u32 v[66:67], null, 0x500, s5, v[38:39]
	global_load_b128 v[36:39], v[36:37], off
	s_clause 0x1
	global_load_b128 v[40:43], v194, s[12:13] offset:3840
	global_load_b128 v[44:47], v194, s[12:13] offset:4480
	s_clause 0x2
	global_load_b128 v[48:51], v[48:49], off
	global_load_b128 v[52:55], v[52:53], off
	;; [unrolled: 1-line block ×4, first 2 shown]
	v_mov_b32_e32 v77, v66
	global_load_b128 v[64:67], v[64:65], off
	s_wait_alu 0xf1ff
	v_add_co_ci_u32_e64 v85, s2, s7, v77, s2
	global_load_b128 v[68:71], v[68:69], off
	global_load_b128 v[72:75], v194, s[12:13] offset:5760
	global_load_b128 v[76:79], v[76:77], off
	global_load_b128 v[80:83], v194, s[12:13] offset:6400
	global_load_b128 v[84:87], v[84:85], off
	s_wait_loadcnt 0xe
	v_mul_f64_e32 v[90:91], v[30:31], v[26:27]
	s_wait_loadcnt 0xd
	v_mul_f64_e32 v[88:89], v[34:35], v[2:3]
	v_mul_f64_e32 v[2:3], v[32:33], v[2:3]
	;; [unrolled: 1-line block ×3, first 2 shown]
	s_wait_loadcnt 0xc
	v_mul_f64_e32 v[92:93], v[38:39], v[6:7]
	v_mul_f64_e32 v[6:7], v[36:37], v[6:7]
	s_wait_loadcnt 0x9
	v_mul_f64_e32 v[94:95], v[50:51], v[10:11]
	v_mul_f64_e32 v[10:11], v[48:49], v[10:11]
	;; [unrolled: 3-line block ×9, first 2 shown]
	v_fma_f64 v[32:33], v[32:33], v[0:1], v[88:89]
	v_fma_f64 v[34:35], v[34:35], v[0:1], -v[2:3]
	v_fma_f64 v[0:1], v[28:29], v[24:25], v[90:91]
	v_fma_f64 v[2:3], v[30:31], v[24:25], -v[26:27]
	;; [unrolled: 2-line block ×11, first 2 shown]
	ds_store_b128 v194, v[32:35]
	ds_store_b128 v194, v[22:25] offset:640
	ds_store_b128 v194, v[4:7] offset:1280
	;; [unrolled: 1-line block ×10, first 2 shown]
.LBB0_3:
	s_or_b32 exec_lo, exec_lo, s3
	s_load_b64 s[2:3], s[0:1], 0x20
	global_wb scope:SCOPE_SE
	s_wait_dscnt 0x0
	s_wait_kmcnt 0x0
	s_barrier_signal -1
	s_barrier_wait -1
	global_inv scope:SCOPE_SE
                                        ; implicit-def: $vgpr12_vgpr13
                                        ; implicit-def: $vgpr32_vgpr33
                                        ; implicit-def: $vgpr28_vgpr29
                                        ; implicit-def: $vgpr20_vgpr21
                                        ; implicit-def: $vgpr16_vgpr17
                                        ; implicit-def: $vgpr8_vgpr9
                                        ; implicit-def: $vgpr4_vgpr5
                                        ; implicit-def: $vgpr24_vgpr25
                                        ; implicit-def: $vgpr40_vgpr41
                                        ; implicit-def: $vgpr44_vgpr45
                                        ; implicit-def: $vgpr36_vgpr37
	s_and_saveexec_b32 s4, vcc_lo
	s_cbranch_execz .LBB0_5
; %bb.4:
	ds_load_b128 v[12:15], v194
	ds_load_b128 v[36:39], v194 offset:640
	ds_load_b128 v[32:35], v194 offset:1280
	;; [unrolled: 1-line block ×10, first 2 shown]
.LBB0_5:
	s_wait_alu 0xfffe
	s_or_b32 exec_lo, exec_lo, s4
	s_wait_dscnt 0x0
	v_add_f64_e64 v[56:57], v[38:39], -v[6:7]
	v_add_f64_e64 v[50:51], v[36:37], -v[4:5]
	s_mov_b32 s6, 0xf8bb580b
	s_mov_b32 s4, 0x8eee2c13
	;; [unrolled: 1-line block ×6, first 2 shown]
	v_add_f64_e32 v[48:49], v[4:5], v[36:37]
	v_add_f64_e32 v[58:59], v[6:7], v[38:39]
	v_add_f64_e64 v[54:55], v[34:35], -v[10:11]
	v_add_f64_e64 v[52:53], v[32:33], -v[8:9]
	s_mov_b32 s22, 0x8764f0ba
	s_mov_b32 s16, 0xd9c712b6
	;; [unrolled: 1-line block ×10, first 2 shown]
	v_add_f64_e32 v[84:85], v[32:33], v[8:9]
	v_add_f64_e32 v[151:152], v[34:35], v[10:11]
	v_add_f64_e64 v[137:138], v[46:47], -v[18:19]
	v_add_f64_e64 v[76:77], v[44:45], -v[16:17]
	s_mov_b32 s30, 0x7f775887
	s_mov_b32 s26, 0x9bcd5057
	;; [unrolled: 1-line block ×5, first 2 shown]
	s_wait_alu 0xfffe
	s_mov_b32 s24, s4
	v_add_f64_e32 v[82:83], v[16:17], v[44:45]
	v_add_f64_e32 v[155:156], v[18:19], v[46:47]
	v_add_f64_e64 v[78:79], v[40:41], -v[20:21]
	v_add_f64_e64 v[133:134], v[42:43], -v[22:23]
	s_mov_b32 s35, 0x3fefac9e
	s_mov_b32 s34, s14
	v_mul_f64_e32 v[60:61], s[6:7], v[56:57]
	v_mul_f64_e32 v[62:63], s[6:7], v[50:51]
	;; [unrolled: 1-line block ×6, first 2 shown]
	v_add_f64_e32 v[88:89], v[20:21], v[40:41]
	v_add_f64_e32 v[153:154], v[22:23], v[42:43]
	v_add_f64_e64 v[80:81], v[28:29], -v[24:25]
	v_add_f64_e64 v[125:126], v[30:31], -v[26:27]
	v_mul_f64_e32 v[86:87], s[4:5], v[54:55]
	v_mul_f64_e32 v[92:93], s[4:5], v[52:53]
	;; [unrolled: 1-line block ×6, first 2 shown]
	s_mov_b32 s37, 0xbfd207e7
	s_mov_b32 s39, 0x3fe14ced
	;; [unrolled: 1-line block ×4, first 2 shown]
	v_add_f64_e32 v[149:150], v[30:31], v[26:27]
	s_load_b64 s[10:11], s[0:1], 0x8
	v_mul_lo_u16 v196, v195, 11
	global_wb scope:SCOPE_SE
	v_mul_f64_e32 v[94:95], s[14:15], v[137:138]
	v_mul_f64_e32 v[104:105], s[14:15], v[76:77]
	v_mul_f64_e32 v[110:111], s[20:21], v[137:138]
	v_mul_f64_e32 v[123:124], s[20:21], v[76:77]
	v_mul_f64_e32 v[129:130], s[24:25], v[137:138]
	v_mul_f64_e32 v[141:142], s[24:25], v[76:77]
	s_wait_kmcnt 0x0
	s_barrier_signal -1
	s_barrier_wait -1
	global_inv scope:SCOPE_SE
	v_mul_f64_e32 v[96:97], s[28:29], v[78:79]
	v_mul_f64_e32 v[90:91], s[28:29], v[133:134]
	;; [unrolled: 1-line block ×4, first 2 shown]
	v_fma_f64 v[0:1], v[48:49], s[22:23], v[60:61]
	v_fma_f64 v[2:3], v[58:59], s[22:23], -v[62:63]
	v_fma_f64 v[64:65], v[48:49], s[16:17], v[72:73]
	v_fma_f64 v[66:67], v[58:59], s[16:17], -v[74:75]
	;; [unrolled: 2-line block ×3, first 2 shown]
	v_mul_f64_e32 v[119:120], s[6:7], v[133:134]
	v_mul_f64_e32 v[135:136], s[6:7], v[78:79]
	;; [unrolled: 1-line block ×3, first 2 shown]
	v_fma_f64 v[98:99], v[84:85], s[16:17], v[86:87]
	v_fma_f64 v[100:101], v[151:152], s[16:17], -v[92:93]
	v_fma_f64 v[108:109], v[84:85], s[30:31], v[102:103]
	v_fma_f64 v[115:116], v[151:152], s[30:31], -v[117:118]
	;; [unrolled: 2-line block ×6, first 2 shown]
	v_fma_f64 v[171:172], v[153:154], s[30:31], -v[96:97]
	v_fma_f64 v[169:170], v[88:89], s[30:31], v[90:91]
	v_fma_f64 v[173:174], v[88:89], s[18:19], v[106:107]
	v_fma_f64 v[175:176], v[153:154], s[18:19], -v[113:114]
	v_add_f64_e32 v[0:1], v[12:13], v[0:1]
	v_add_f64_e32 v[2:3], v[14:15], v[2:3]
	;; [unrolled: 1-line block ×6, first 2 shown]
	v_fma_f64 v[177:178], v[88:89], s[22:23], v[119:120]
	v_fma_f64 v[179:180], v[153:154], s[22:23], -v[135:136]
	v_add_f64_e32 v[0:1], v[98:99], v[0:1]
	v_add_f64_e32 v[2:3], v[100:101], v[2:3]
	;; [unrolled: 1-line block ×7, first 2 shown]
	v_mul_f64_e32 v[100:101], s[36:37], v[125:126]
	v_mul_f64_e32 v[108:109], s[36:37], v[80:81]
	v_mul_f64_e32 v[115:116], s[38:39], v[125:126]
	v_mul_f64_e32 v[121:122], s[38:39], v[80:81]
	v_mul_f64_e32 v[127:128], s[28:29], v[125:126]
	v_add_f64_e32 v[0:1], v[157:158], v[0:1]
	v_add_f64_e32 v[2:3], v[159:160], v[2:3]
	;; [unrolled: 1-line block ×6, first 2 shown]
	v_fma_f64 v[167:168], v[149:150], s[30:31], -v[131:132]
	v_fma_f64 v[157:158], v[98:99], s[26:27], v[100:101]
	v_fma_f64 v[159:160], v[149:150], s[26:27], -v[108:109]
	v_fma_f64 v[161:162], v[98:99], s[22:23], v[115:116]
	;; [unrolled: 2-line block ×3, first 2 shown]
	v_add_f64_e32 v[0:1], v[169:170], v[0:1]
	v_add_f64_e32 v[2:3], v[171:172], v[2:3]
	;; [unrolled: 1-line block ×12, first 2 shown]
	s_and_saveexec_b32 s33, vcc_lo
	s_cbranch_execz .LBB0_7
; %bb.6:
	v_add_f64_e32 v[38:39], v[14:15], v[38:39]
	v_add_f64_e32 v[36:37], v[12:13], v[36:37]
	v_mul_f64_e32 v[157:158], s[16:17], v[58:59]
	v_mul_f64_e32 v[159:160], s[16:17], v[48:49]
	;; [unrolled: 1-line block ×3, first 2 shown]
	s_mov_b32 s1, 0x3fe82f19
	s_mov_b32 s0, s28
	v_mul_f64_e32 v[163:164], s[22:23], v[151:152]
	v_mul_f64_e32 v[167:168], s[18:19], v[151:152]
	;; [unrolled: 1-line block ×15, first 2 shown]
	v_add_f64_e32 v[34:35], v[34:35], v[38:39]
	v_add_f64_e32 v[32:33], v[32:33], v[36:37]
	v_mul_f64_e32 v[36:37], s[26:27], v[58:59]
	v_mul_f64_e32 v[38:39], s[36:37], v[56:57]
	;; [unrolled: 1-line block ×3, first 2 shown]
	v_add_f64_e64 v[72:73], v[159:160], -v[72:73]
	v_fma_f64 v[159:160], v[52:53], s[38:39], v[163:164]
	v_add_f64_e32 v[147:148], v[147:148], v[171:172]
	v_add_f64_e32 v[117:118], v[117:118], v[181:182]
	v_fma_f64 v[171:172], v[84:85], s[18:19], v[54:55]
	v_fma_f64 v[54:55], v[84:85], s[18:19], -v[54:55]
	v_add_f64_e64 v[145:146], v[173:174], -v[145:146]
	v_add_f64_e32 v[92:93], v[92:93], v[151:152]
	v_add_f64_e64 v[86:87], v[187:188], -v[86:87]
	v_add_f64_e32 v[141:142], v[141:142], v[169:170]
	v_add_f64_e32 v[123:124], v[123:124], v[179:180]
	v_fma_f64 v[187:188], v[76:77], s[38:39], v[165:166]
	v_add_f64_e64 v[129:130], v[175:176], -v[129:130]
	v_fma_f64 v[169:170], v[82:83], s[30:31], -v[185:186]
	v_mul_f64_e32 v[181:182], s[26:27], v[149:150]
	v_add_f64_e32 v[34:35], v[46:47], v[34:35]
	v_add_f64_e32 v[32:33], v[44:45], v[32:33]
	v_mul_f64_e32 v[44:45], s[30:31], v[58:59]
	v_mul_f64_e32 v[46:47], s[18:19], v[58:59]
	;; [unrolled: 1-line block ×3, first 2 shown]
	v_fma_f64 v[189:190], v[50:51], s[20:21], v[36:37]
	v_fma_f64 v[36:37], v[50:51], s[36:37], v[36:37]
	v_fma_f64 v[191:192], v[48:49], s[26:27], v[38:39]
	v_fma_f64 v[38:39], v[48:49], s[26:27], -v[38:39]
	v_add_f64_e32 v[72:73], v[12:13], v[72:73]
	v_add_f64_e32 v[34:35], v[42:43], v[34:35]
	;; [unrolled: 1-line block ×3, first 2 shown]
	v_mul_f64_e32 v[40:41], s[22:23], v[48:49]
	s_wait_alu 0xfffe
	v_fma_f64 v[197:198], v[50:51], s[0:1], v[44:45]
	v_fma_f64 v[44:45], v[50:51], s[28:29], v[44:45]
	v_add_f64_e32 v[46:47], v[143:144], v[46:47]
	v_add_f64_e32 v[50:51], v[74:75], v[157:158]
	v_add_f64_e64 v[74:75], v[161:162], -v[139:140]
	v_fma_f64 v[139:140], v[48:49], s[30:31], -v[56:57]
	v_fma_f64 v[48:49], v[48:49], s[30:31], v[56:57]
	v_add_f64_e32 v[56:57], v[62:63], v[58:59]
	v_mul_f64_e32 v[58:59], s[26:27], v[82:83]
	v_fma_f64 v[157:158], v[52:53], s[6:7], v[163:164]
	v_fma_f64 v[161:162], v[52:53], s[14:15], v[167:168]
	;; [unrolled: 1-line block ×4, first 2 shown]
	v_fma_f64 v[167:168], v[84:85], s[22:23], -v[177:178]
	v_add_f64_e64 v[84:85], v[183:184], -v[102:103]
	v_mul_f64_e32 v[42:43], s[30:31], v[155:156]
	v_add_f64_e32 v[102:103], v[14:15], v[189:190]
	v_add_f64_e32 v[151:152], v[12:13], v[191:192]
	v_add_f64_e32 v[36:37], v[14:15], v[36:37]
	v_add_f64_e32 v[38:39], v[12:13], v[38:39]
	v_mul_f64_e32 v[143:144], s[24:25], v[133:134]
	v_mul_f64_e32 v[62:63], s[30:31], v[153:154]
	v_mul_f64_e32 v[177:178], s[26:27], v[98:99]
	v_add_f64_e32 v[30:31], v[30:31], v[34:35]
	v_add_f64_e32 v[28:29], v[28:29], v[32:33]
	v_add_f64_e64 v[32:33], v[40:41], -v[60:61]
	v_mul_f64_e32 v[34:35], s[6:7], v[137:138]
	v_add_f64_e32 v[44:45], v[14:15], v[44:45]
	v_add_f64_e32 v[46:47], v[14:15], v[46:47]
	;; [unrolled: 1-line block ×4, first 2 shown]
	v_mul_f64_e32 v[60:61], s[18:19], v[82:83]
	v_add_f64_e32 v[139:140], v[12:13], v[139:140]
	v_add_f64_e32 v[173:174], v[14:15], v[197:198]
	;; [unrolled: 1-line block ×3, first 2 shown]
	v_mul_f64_e32 v[40:41], s[18:19], v[155:156]
	v_add_f64_e32 v[14:15], v[14:15], v[56:57]
	v_add_f64_e64 v[58:59], v[58:59], -v[110:111]
	v_mul_f64_e32 v[137:138], s[16:17], v[153:154]
	v_mul_f64_e32 v[56:57], s[22:23], v[88:89]
	;; [unrolled: 1-line block ×3, first 2 shown]
	v_fma_f64 v[183:184], v[76:77], s[0:1], v[42:43]
	v_fma_f64 v[42:43], v[76:77], s[28:29], v[42:43]
	;; [unrolled: 1-line block ×4, first 2 shown]
	v_add_f64_e32 v[36:37], v[159:160], v[36:37]
	v_add_f64_e32 v[38:39], v[167:168], v[38:39]
	v_mul_f64_e32 v[110:111], s[24:25], v[125:126]
	v_add_f64_e32 v[62:63], v[96:97], v[62:63]
	v_add_f64_e64 v[96:97], v[177:178], -v[100:101]
	v_add_f64_e32 v[26:27], v[26:27], v[30:31]
	v_add_f64_e32 v[24:25], v[24:25], v[28:29]
	;; [unrolled: 1-line block ×3, first 2 shown]
	v_mul_f64_e32 v[28:29], s[18:19], v[153:154]
	v_mul_f64_e32 v[30:31], s[36:37], v[133:134]
	;; [unrolled: 1-line block ×4, first 2 shown]
	v_add_f64_e32 v[44:45], v[52:53], v[44:45]
	v_add_f64_e32 v[46:47], v[147:148], v[46:47]
	;; [unrolled: 1-line block ×4, first 2 shown]
	v_fma_f64 v[175:176], v[82:83], s[22:23], v[34:35]
	v_fma_f64 v[34:35], v[82:83], s[22:23], -v[34:35]
	v_add_f64_e32 v[82:83], v[157:158], v[102:103]
	v_add_f64_e32 v[72:73], v[145:146], v[74:75]
	v_add_f64_e64 v[60:61], v[60:61], -v[94:95]
	v_add_f64_e32 v[94:95], v[163:164], v[151:152]
	v_add_f64_e32 v[54:55], v[54:55], v[139:140]
	v_add_f64_e32 v[102:103], v[161:162], v[173:174]
	v_add_f64_e32 v[48:49], v[171:172], v[48:49]
	v_mul_f64_e32 v[153:154], s[30:31], v[88:89]
	v_add_f64_e32 v[40:41], v[104:105], v[40:41]
	v_add_f64_e32 v[14:15], v[92:93], v[14:15]
	v_mul_f64_e32 v[92:93], s[14:15], v[125:126]
	v_fma_f64 v[125:126], v[88:89], s[16:17], v[143:144]
	v_fma_f64 v[139:140], v[88:89], s[16:17], -v[143:144]
	v_mul_f64_e32 v[74:75], s[30:31], v[98:99]
	v_mul_f64_e32 v[84:85], s[30:31], v[149:150]
	v_fma_f64 v[117:118], v[78:79], s[4:5], v[137:138]
	v_add_f64_e64 v[56:57], v[56:57], -v[119:120]
	v_mul_f64_e32 v[104:105], s[16:17], v[149:150]
	v_fma_f64 v[137:138], v[78:79], s[24:25], v[137:138]
	v_fma_f64 v[143:144], v[78:79], s[20:21], v[155:156]
	;; [unrolled: 1-line block ×3, first 2 shown]
	v_add_f64_e32 v[36:37], v[42:43], v[36:37]
	v_add_f64_e32 v[38:39], v[169:170], v[38:39]
	;; [unrolled: 1-line block ×5, first 2 shown]
	v_mul_f64_e32 v[24:25], s[22:23], v[98:99]
	v_mul_f64_e32 v[26:27], s[22:23], v[149:150]
	;; [unrolled: 1-line block ×3, first 2 shown]
	v_fma_f64 v[145:146], v[88:89], s[26:27], v[30:31]
	v_fma_f64 v[30:31], v[88:89], s[26:27], -v[30:31]
	v_add_f64_e32 v[32:33], v[135:136], v[32:33]
	v_add_f64_e32 v[28:29], v[113:114], v[28:29]
	v_add_f64_e64 v[88:89], v[133:134], -v[106:107]
	v_add_f64_e32 v[46:47], v[141:142], v[46:47]
	v_add_f64_e32 v[50:51], v[123:124], v[50:51]
	v_add_f64_e32 v[52:53], v[58:59], v[52:53]
	v_add_f64_e32 v[82:83], v[183:184], v[82:83]
	v_add_f64_e32 v[58:59], v[129:130], v[72:73]
	v_add_f64_e32 v[94:95], v[165:166], v[94:95]
	v_add_f64_e32 v[44:45], v[76:77], v[44:45]
	v_add_f64_e32 v[34:35], v[34:35], v[54:55]
	v_add_f64_e32 v[42:43], v[187:188], v[102:103]
	v_add_f64_e32 v[48:49], v[175:176], v[48:49]
	v_add_f64_e64 v[90:91], v[153:154], -v[90:91]
	v_add_f64_e32 v[14:15], v[40:41], v[14:15]
	v_fma_f64 v[54:55], v[98:99], s[18:19], -v[92:93]
	v_fma_f64 v[72:73], v[98:99], s[16:17], v[110:111]
	v_add_f64_e64 v[74:75], v[74:75], -v[127:128]
	v_add_f64_e32 v[84:85], v[131:132], v[84:85]
	v_fma_f64 v[76:77], v[80:81], s[24:25], v[104:105]
	v_add_f64_e32 v[36:37], v[137:138], v[36:37]
	v_add_f64_e32 v[38:39], v[139:140], v[38:39]
	;; [unrolled: 1-line block ×5, first 2 shown]
	v_add_f64_e64 v[24:25], v[24:25], -v[115:116]
	v_fma_f64 v[22:23], v[98:99], s[18:19], v[92:93]
	v_fma_f64 v[20:21], v[80:81], s[34:35], v[86:87]
	;; [unrolled: 1-line block ×3, first 2 shown]
	v_add_f64_e32 v[86:87], v[121:122], v[26:27]
	v_fma_f64 v[60:61], v[80:81], s[4:5], v[104:105]
	v_fma_f64 v[80:81], v[98:99], s[16:17], -v[110:111]
	v_add_f64_e32 v[92:93], v[108:109], v[181:182]
	v_add_f64_e32 v[32:33], v[32:33], v[46:47]
	;; [unrolled: 1-line block ×17, first 2 shown]
	v_and_b32_e32 v36, 0xffff, v196
	v_add_f64_e32 v[30:31], v[86:87], v[28:29]
	v_add_f64_e32 v[28:29], v[24:25], v[46:47]
	;; [unrolled: 1-line block ×11, first 2 shown]
	v_lshlrev_b32_e32 v36, 4, v36
	v_add_f64_e32 v[6:7], v[6:7], v[56:57]
	v_add_f64_e32 v[4:5], v[4:5], v[58:59]
	;; [unrolled: 1-line block ×3, first 2 shown]
	ds_store_b128 v36, v[64:67] offset:128
	ds_store_b128 v36, v[68:71] offset:144
	;; [unrolled: 1-line block ×8, first 2 shown]
	ds_store_b128 v36, v[4:7]
	ds_store_b128 v36, v[32:35] offset:16
	ds_store_b128 v36, v[0:3] offset:160
.LBB0_7:
	s_or_b32 exec_lo, exec_lo, s33
	v_and_b32_e32 v4, 0xff, v195
	s_load_b128 s[4:7], s[2:3], 0x0
	global_wb scope:SCOPE_SE
	s_wait_dscnt 0x0
	s_wait_kmcnt 0x0
	s_barrier_signal -1
	s_barrier_wait -1
	v_mul_lo_u16 v4, 0x75, v4
	global_inv scope:SCOPE_SE
	s_mov_b32 s0, 0x667f3bcd
	s_mov_b32 s1, 0xbfe6a09e
	;; [unrolled: 1-line block ×3, first 2 shown]
	v_lshrrev_b16 v4, 8, v4
	s_wait_alu 0xfffe
	s_mov_b32 s2, s0
	s_delay_alu instid0(VALU_DEP_1) | instskip(NEXT) | instid1(VALU_DEP_1)
	v_sub_nc_u16 v5, v195, v4
	v_lshrrev_b16 v5, 1, v5
	s_delay_alu instid0(VALU_DEP_1) | instskip(NEXT) | instid1(VALU_DEP_1)
	v_and_b32_e32 v5, 0x7f, v5
	v_add_nc_u16 v4, v5, v4
	s_delay_alu instid0(VALU_DEP_1) | instskip(NEXT) | instid1(VALU_DEP_1)
	v_lshrrev_b16 v96, 3, v4
	v_mul_lo_u16 v4, v96, 11
	s_delay_alu instid0(VALU_DEP_1) | instskip(NEXT) | instid1(VALU_DEP_1)
	v_sub_nc_u16 v4, v195, v4
	v_and_b32_e32 v97, 0xff, v4
	s_delay_alu instid0(VALU_DEP_1)
	v_mad_co_u64_u32 v[4:5], null, 0x70, v97, s[10:11]
	s_clause 0x6
	global_load_b128 v[28:31], v[4:5], off
	global_load_b128 v[24:27], v[4:5], off offset:16
	global_load_b128 v[20:23], v[4:5], off offset:48
	;; [unrolled: 1-line block ×6, first 2 shown]
	ds_load_b128 v[4:7], v194 offset:880
	ds_load_b128 v[8:11], v194 offset:1760
	;; [unrolled: 1-line block ×7, first 2 shown]
	s_wait_loadcnt_dscnt 0x606
	v_mul_f64_e32 v[60:61], v[6:7], v[30:31]
	v_mul_f64_e32 v[62:63], v[4:5], v[30:31]
	s_wait_loadcnt_dscnt 0x505
	v_mul_f64_e32 v[72:73], v[10:11], v[26:27]
	v_mul_f64_e32 v[74:75], v[8:9], v[26:27]
	;; [unrolled: 3-line block ×7, first 2 shown]
	v_fma_f64 v[60:61], v[4:5], v[28:29], -v[60:61]
	v_fma_f64 v[62:63], v[6:7], v[28:29], v[62:63]
	v_fma_f64 v[8:9], v[8:9], v[24:25], -v[72:73]
	v_fma_f64 v[10:11], v[10:11], v[24:25], v[74:75]
	;; [unrolled: 2-line block ×7, first 2 shown]
	ds_load_b128 v[4:7], v194
	global_wb scope:SCOPE_SE
	s_wait_dscnt 0x0
	s_barrier_signal -1
	s_barrier_wait -1
	global_inv scope:SCOPE_SE
	v_add_f64_e64 v[12:13], v[4:5], -v[12:13]
	v_add_f64_e64 v[14:15], v[6:7], -v[14:15]
	;; [unrolled: 1-line block ×8, first 2 shown]
	v_fma_f64 v[4:5], v[4:5], 2.0, -v[12:13]
	v_fma_f64 v[6:7], v[6:7], 2.0, -v[14:15]
	;; [unrolled: 1-line block ×6, first 2 shown]
	v_add_f64_e64 v[18:19], v[12:13], -v[18:19]
	v_add_f64_e32 v[16:17], v[14:15], v[16:17]
	v_fma_f64 v[52:53], v[52:53], 2.0, -v[56:57]
	v_fma_f64 v[54:55], v[54:55], 2.0, -v[58:59]
	v_add_f64_e64 v[58:59], v[48:49], -v[58:59]
	v_add_f64_e32 v[56:57], v[50:51], v[56:57]
	v_add_f64_e64 v[8:9], v[4:5], -v[8:9]
	v_add_f64_e64 v[10:11], v[6:7], -v[10:11]
	v_fma_f64 v[76:77], v[12:13], 2.0, -v[18:19]
	v_fma_f64 v[78:79], v[14:15], 2.0, -v[16:17]
	v_add_f64_e64 v[12:13], v[60:61], -v[52:53]
	v_add_f64_e64 v[14:15], v[62:63], -v[54:55]
	v_fma_f64 v[48:49], v[48:49], 2.0, -v[58:59]
	v_fma_f64 v[50:51], v[50:51], 2.0, -v[56:57]
	s_wait_alu 0xfffe
	v_fma_f64 v[52:53], v[58:59], s[2:3], v[18:19]
	v_fma_f64 v[54:55], v[56:57], s[2:3], v[16:17]
	v_fma_f64 v[88:89], v[4:5], 2.0, -v[8:9]
	v_fma_f64 v[90:91], v[6:7], 2.0, -v[10:11]
	;; [unrolled: 1-line block ×4, first 2 shown]
	v_fma_f64 v[60:61], v[48:49], s[0:1], v[76:77]
	v_fma_f64 v[62:63], v[50:51], s[0:1], v[78:79]
	v_add_f64_e64 v[80:81], v[8:9], -v[14:15]
	v_add_f64_e32 v[82:83], v[10:11], v[12:13]
	v_fma_f64 v[84:85], v[56:57], s[0:1], v[52:53]
	v_fma_f64 v[86:87], v[58:59], s[2:3], v[54:55]
	v_and_b32_e32 v52, 0xffff, v96
	s_delay_alu instid0(VALU_DEP_1) | instskip(NEXT) | instid1(VALU_DEP_1)
	v_mul_u32_u24_e32 v52, 0x58, v52
	v_add_lshl_u32 v197, v52, v97, 4
	v_add_f64_e64 v[4:5], v[88:89], -v[4:5]
	v_add_f64_e64 v[6:7], v[90:91], -v[6:7]
	v_fma_f64 v[72:73], v[50:51], s[0:1], v[60:61]
	v_fma_f64 v[74:75], v[48:49], s[2:3], v[62:63]
	v_fma_f64 v[8:9], v[8:9], 2.0, -v[80:81]
	v_fma_f64 v[10:11], v[10:11], 2.0, -v[82:83]
	;; [unrolled: 1-line block ×4, first 2 shown]
	v_cmp_gt_u16_e64 s0, 33, v195
	v_fma_f64 v[16:17], v[88:89], 2.0, -v[4:5]
	v_fma_f64 v[18:19], v[90:91], 2.0, -v[6:7]
	;; [unrolled: 1-line block ×4, first 2 shown]
	ds_store_b128 v197, v[80:83] offset:1056
	ds_store_b128 v197, v[84:87] offset:1232
	;; [unrolled: 1-line block ×6, first 2 shown]
	ds_store_b128 v197, v[16:19]
	ds_store_b128 v197, v[48:51] offset:176
	global_wb scope:SCOPE_SE
	s_wait_dscnt 0x0
	s_barrier_signal -1
	s_barrier_wait -1
	global_inv scope:SCOPE_SE
	ds_load_b128 v[76:79], v194
	ds_load_b128 v[100:103], v194 offset:1408
	ds_load_b128 v[88:91], v194 offset:2816
	;; [unrolled: 1-line block ×4, first 2 shown]
	s_and_saveexec_b32 s1, s0
	s_cbranch_execz .LBB0_9
; %bb.8:
	ds_load_b128 v[72:75], v194 offset:880
	ds_load_b128 v[80:83], v194 offset:2288
	;; [unrolled: 1-line block ×5, first 2 shown]
.LBB0_9:
	s_wait_alu 0xfffe
	s_or_b32 exec_lo, exec_lo, s1
	v_add_co_u32 v4, s1, v195, 55
	s_wait_alu 0xf1ff
	v_add_co_ci_u32_e64 v5, null, 0, 0, s1
	v_add_co_u32 v6, s1, 0xffffffdf, v195
	s_wait_alu 0xf1ff
	v_add_co_ci_u32_e64 v7, null, 0, -1, s1
	s_mov_b32 s2, 0x134454ff
	s_delay_alu instid0(VALU_DEP_2) | instskip(SKIP_1) | instid1(VALU_DEP_3)
	v_cndmask_b32_e64 v4, v6, v4, s0
	v_lshlrev_b32_e32 v6, 6, v195
	v_cndmask_b32_e64 v5, v7, v5, s0
	s_clause 0x2
	global_load_b128 v[48:51], v6, s[10:11] offset:1264
	global_load_b128 v[52:55], v6, s[10:11] offset:1248
	;; [unrolled: 1-line block ×3, first 2 shown]
	v_lshlrev_b64_e32 v[4:5], 6, v[4:5]
	s_mov_b32 s3, 0x3fee6f0e
	s_delay_alu instid0(VALU_DEP_1) | instskip(SKIP_1) | instid1(VALU_DEP_2)
	v_add_co_u32 v8, s1, s10, v4
	s_wait_alu 0xf1ff
	v_add_co_ci_u32_e64 v9, s1, s11, v5, s1
	s_clause 0x4
	global_load_b128 v[56:59], v6, s[10:11] offset:1280
	global_load_b128 v[4:7], v[8:9], off offset:1232
	global_load_b128 v[16:19], v[8:9], off offset:1248
	;; [unrolled: 1-line block ×4, first 2 shown]
	s_mov_b32 s11, 0xbfee6f0e
	s_wait_alu 0xfffe
	s_mov_b32 s10, s2
	s_wait_loadcnt_dscnt 0x701
	v_mul_f64_e32 v[108:109], v[94:95], v[50:51]
	s_wait_loadcnt 0x6
	v_mul_f64_e32 v[106:107], v[90:91], v[54:55]
	s_wait_loadcnt 0x5
	v_mul_f64_e32 v[104:105], v[102:103], v[62:63]
	v_mul_f64_e32 v[110:111], v[100:101], v[62:63]
	v_mul_f64_e32 v[115:116], v[88:89], v[54:55]
	v_mul_f64_e32 v[117:118], v[92:93], v[50:51]
	s_wait_loadcnt_dscnt 0x400
	v_mul_f64_e32 v[113:114], v[98:99], v[58:59]
	v_mul_f64_e32 v[119:120], v[96:97], v[58:59]
	s_wait_loadcnt 0x3
	v_mul_f64_e32 v[121:122], v[82:83], v[6:7]
	s_wait_loadcnt 0x2
	;; [unrolled: 2-line block ×3, first 2 shown]
	v_mul_f64_e32 v[125:126], v[66:67], v[14:15]
	v_mul_f64_e32 v[127:128], v[80:81], v[6:7]
	s_wait_loadcnt 0x0
	v_mul_f64_e32 v[129:130], v[70:71], v[10:11]
	v_mul_f64_e32 v[131:132], v[84:85], v[18:19]
	;; [unrolled: 1-line block ×4, first 2 shown]
	v_fma_f64 v[92:93], v[92:93], v[48:49], -v[108:109]
	v_fma_f64 v[88:89], v[88:89], v[52:53], -v[106:107]
	;; [unrolled: 1-line block ×3, first 2 shown]
	v_fma_f64 v[102:103], v[102:103], v[60:61], v[110:111]
	v_fma_f64 v[90:91], v[90:91], v[52:53], v[115:116]
	;; [unrolled: 1-line block ×3, first 2 shown]
	v_fma_f64 v[96:97], v[96:97], v[56:57], -v[113:114]
	v_fma_f64 v[98:99], v[98:99], v[56:57], v[119:120]
	v_fma_f64 v[80:81], v[80:81], v[4:5], -v[121:122]
	v_fma_f64 v[84:85], v[84:85], v[16:17], -v[123:124]
	;; [unrolled: 1-line block ×3, first 2 shown]
	v_fma_f64 v[82:83], v[82:83], v[4:5], v[127:128]
	v_fma_f64 v[68:69], v[68:69], v[8:9], -v[129:130]
	v_fma_f64 v[86:87], v[86:87], v[16:17], v[131:132]
	v_fma_f64 v[66:67], v[66:67], v[12:13], v[133:134]
	;; [unrolled: 1-line block ×3, first 2 shown]
	v_add_f64_e32 v[104:105], v[88:89], v[92:93]
	v_add_f64_e32 v[121:122], v[76:77], v[100:101]
	;; [unrolled: 1-line block ×3, first 2 shown]
	v_add_f64_e64 v[143:144], v[102:103], -v[90:91]
	v_add_f64_e32 v[108:109], v[90:91], v[94:95]
	v_add_f64_e64 v[125:126], v[90:91], -v[94:95]
	v_add_f64_e32 v[106:107], v[100:101], v[96:97]
	v_add_f64_e32 v[110:111], v[102:103], v[98:99]
	v_add_f64_e64 v[123:124], v[102:103], -v[98:99]
	v_add_f64_e32 v[129:130], v[72:73], v[80:81]
	v_add_f64_e32 v[113:114], v[84:85], v[64:65]
	;; [unrolled: 1-line block ×4, first 2 shown]
	v_add_f64_e64 v[133:134], v[100:101], -v[96:97]
	v_add_f64_e32 v[117:118], v[86:87], v[66:67]
	v_add_f64_e32 v[119:120], v[82:83], v[70:71]
	v_add_f64_e64 v[135:136], v[82:83], -v[70:71]
	v_add_f64_e64 v[137:138], v[80:81], -v[68:69]
	;; [unrolled: 1-line block ×15, first 2 shown]
	v_fma_f64 v[104:105], v[104:105], -0.5, v[76:77]
	v_add_f64_e32 v[90:91], v[127:128], v[90:91]
	v_fma_f64 v[108:109], v[108:109], -0.5, v[78:79]
	v_fma_f64 v[76:77], v[106:107], -0.5, v[76:77]
	v_add_f64_e64 v[106:107], v[88:89], -v[92:93]
	v_fma_f64 v[78:79], v[110:111], -0.5, v[78:79]
	v_add_f64_e64 v[110:111], v[86:87], -v[66:67]
	v_fma_f64 v[113:114], v[113:114], -0.5, v[72:73]
	v_add_f64_e32 v[86:87], v[131:132], v[86:87]
	v_fma_f64 v[72:73], v[115:116], -0.5, v[72:73]
	v_add_f64_e64 v[115:116], v[84:85], -v[64:65]
	v_fma_f64 v[117:118], v[117:118], -0.5, v[74:75]
	v_fma_f64 v[74:75], v[119:120], -0.5, v[74:75]
	v_add_f64_e64 v[119:120], v[100:101], -v[88:89]
	v_add_f64_e64 v[100:101], v[88:89], -v[100:101]
	v_add_f64_e32 v[88:89], v[121:122], v[88:89]
	v_add_f64_e32 v[84:85], v[129:130], v[84:85]
	;; [unrolled: 1-line block ×4, first 2 shown]
	v_fma_f64 v[121:122], v[123:124], s[2:3], v[104:105]
	s_wait_alu 0xfffe
	v_fma_f64 v[104:105], v[123:124], s[10:11], v[104:105]
	v_add_f64_e32 v[90:91], v[90:91], v[94:95]
	v_fma_f64 v[129:130], v[133:134], s[10:11], v[108:109]
	v_fma_f64 v[108:109], v[133:134], s[2:3], v[108:109]
	v_fma_f64 v[127:128], v[125:126], s[10:11], v[76:77]
	v_fma_f64 v[76:77], v[125:126], s[2:3], v[76:77]
	v_fma_f64 v[131:132], v[106:107], s[2:3], v[78:79]
	v_fma_f64 v[78:79], v[106:107], s[10:11], v[78:79]
	v_fma_f64 v[161:162], v[135:136], s[2:3], v[113:114]
	v_fma_f64 v[113:114], v[135:136], s[10:11], v[113:114]
	v_fma_f64 v[163:164], v[110:111], s[10:11], v[72:73]
	v_fma_f64 v[72:73], v[110:111], s[2:3], v[72:73]
	v_fma_f64 v[165:166], v[137:138], s[10:11], v[117:118]
	v_fma_f64 v[117:118], v[137:138], s[2:3], v[117:118]
	v_fma_f64 v[167:168], v[115:116], s[2:3], v[74:75]
	v_fma_f64 v[74:75], v[115:116], s[10:11], v[74:75]
	s_mov_b32 s2, 0x4755a5e
	s_mov_b32 s3, 0x3fe2cf23
	;; [unrolled: 1-line block ×3, first 2 shown]
	s_wait_alu 0xfffe
	s_mov_b32 s10, s2
	v_add_f64_e32 v[119:120], v[119:120], v[139:140]
	v_add_f64_e32 v[139:140], v[100:101], v[141:142]
	;; [unrolled: 1-line block ×9, first 2 shown]
	v_fma_f64 v[100:101], v[125:126], s[2:3], v[121:122]
	s_wait_alu 0xfffe
	v_fma_f64 v[102:103], v[125:126], s[10:11], v[104:105]
	v_add_f64_e32 v[66:67], v[90:91], v[98:99]
	v_fma_f64 v[121:122], v[106:107], s[10:11], v[129:130]
	v_fma_f64 v[106:107], v[106:107], s[2:3], v[108:109]
	v_fma_f64 v[104:105], v[123:124], s[2:3], v[127:128]
	v_fma_f64 v[76:77], v[123:124], s[10:11], v[76:77]
	v_fma_f64 v[123:124], v[133:134], s[10:11], v[131:132]
	v_fma_f64 v[78:79], v[133:134], s[2:3], v[78:79]
	v_fma_f64 v[125:126], v[110:111], s[2:3], v[161:162]
	v_fma_f64 v[113:114], v[110:111], s[10:11], v[113:114]
	v_fma_f64 v[127:128], v[135:136], s[2:3], v[163:164]
	v_fma_f64 v[72:73], v[135:136], s[10:11], v[72:73]
	v_fma_f64 v[129:130], v[115:116], s[10:11], v[165:166]
	v_fma_f64 v[115:116], v[115:116], s[2:3], v[117:118]
	v_fma_f64 v[117:118], v[137:138], s[10:11], v[167:168]
	v_fma_f64 v[74:75], v[137:138], s[2:3], v[74:75]
	s_mov_b32 s2, 0x372fe950
	s_mov_b32 s3, 0x3fd3c6ef
	v_add_f64_e32 v[64:65], v[88:89], v[96:97]
	v_add_f64_e32 v[92:93], v[84:85], v[68:69]
	;; [unrolled: 1-line block ×3, first 2 shown]
	s_wait_alu 0xfffe
	v_fma_f64 v[96:97], v[119:120], s[2:3], v[100:101]
	v_fma_f64 v[100:101], v[119:120], s[2:3], v[102:103]
	;; [unrolled: 1-line block ×16, first 2 shown]
	ds_store_b128 v194, v[64:67]
	ds_store_b128 v194, v[96:99] offset:1408
	ds_store_b128 v194, v[104:107] offset:2816
	;; [unrolled: 1-line block ×4, first 2 shown]
	s_and_saveexec_b32 s1, s0
	s_cbranch_execz .LBB0_11
; %bb.10:
	ds_store_b128 v194, v[92:95] offset:880
	ds_store_b128 v194, v[88:91] offset:2288
	;; [unrolled: 1-line block ×5, first 2 shown]
.LBB0_11:
	s_wait_alu 0xfffe
	s_or_b32 exec_lo, exec_lo, s1
	global_wb scope:SCOPE_SE
	s_wait_dscnt 0x0
	s_barrier_signal -1
	s_barrier_wait -1
	global_inv scope:SCOPE_SE
	s_and_saveexec_b32 s1, vcc_lo
	s_cbranch_execz .LBB0_13
; %bb.12:
	s_add_nc_u64 s[2:3], s[12:13], 0x1b80
	s_clause 0xa
	global_load_b128 v[68:71], v194, s[12:13] offset:7040
	global_load_b128 v[72:75], v194, s[2:3] offset:640
	;; [unrolled: 1-line block ×11, first 2 shown]
	ds_load_b128 v[149:152], v194
	ds_load_b128 v[153:156], v194 offset:640
	ds_load_b128 v[157:160], v194 offset:1280
	ds_load_b128 v[161:164], v194 offset:1920
	ds_load_b128 v[165:168], v194 offset:2560
	ds_load_b128 v[169:172], v194 offset:3200
	ds_load_b128 v[173:176], v194 offset:3840
	ds_load_b128 v[177:180], v194 offset:4480
	ds_load_b128 v[181:184], v194 offset:5120
	ds_load_b128 v[185:188], v194 offset:5760
	ds_load_b128 v[189:192], v194 offset:6400
	s_wait_loadcnt_dscnt 0xa0a
	v_mul_f64_e32 v[198:199], v[151:152], v[70:71]
	v_mul_f64_e32 v[70:71], v[149:150], v[70:71]
	s_wait_loadcnt_dscnt 0x909
	v_mul_f64_e32 v[200:201], v[155:156], v[74:75]
	v_mul_f64_e32 v[74:75], v[153:154], v[74:75]
	;; [unrolled: 3-line block ×11, first 2 shown]
	v_fma_f64 v[147:148], v[149:150], v[68:69], -v[198:199]
	v_fma_f64 v[149:150], v[151:152], v[68:69], v[70:71]
	v_fma_f64 v[68:69], v[153:154], v[72:73], -v[200:201]
	v_fma_f64 v[70:71], v[155:156], v[72:73], v[74:75]
	;; [unrolled: 2-line block ×11, first 2 shown]
	ds_store_b128 v194, v[147:150]
	ds_store_b128 v194, v[68:71] offset:640
	ds_store_b128 v194, v[72:75] offset:1280
	;; [unrolled: 1-line block ×10, first 2 shown]
.LBB0_13:
	s_wait_alu 0xfffe
	s_or_b32 exec_lo, exec_lo, s1
	global_wb scope:SCOPE_SE
	s_wait_dscnt 0x0
	s_barrier_signal -1
	s_barrier_wait -1
	global_inv scope:SCOPE_SE
	s_and_saveexec_b32 s1, vcc_lo
	s_cbranch_execz .LBB0_15
; %bb.14:
	ds_load_b128 v[64:67], v194
	ds_load_b128 v[96:99], v194 offset:640
	ds_load_b128 v[104:107], v194 offset:1280
	;; [unrolled: 1-line block ×10, first 2 shown]
.LBB0_15:
	s_wait_alu 0xfffe
	s_or_b32 exec_lo, exec_lo, s1
	s_wait_dscnt 0x0
	v_add_f64_e64 v[145:146], v[98:99], -v[2:3]
	v_add_f64_e32 v[149:150], v[2:3], v[98:99]
	s_mov_b32 s2, 0xd9c712b6
	s_mov_b32 s20, 0x8eee2c13
	;; [unrolled: 1-line block ×8, first 2 shown]
	v_add_f64_e32 v[141:142], v[0:1], v[96:97]
	v_add_f64_e64 v[153:154], v[96:97], -v[0:1]
	v_add_f64_e64 v[117:118], v[106:107], -v[78:79]
	v_add_f64_e32 v[113:114], v[106:107], v[78:79]
	s_mov_b32 s14, 0x7f775887
	s_mov_b32 s22, 0xbb3a28a1
	;; [unrolled: 1-line block ×8, first 2 shown]
	v_add_f64_e32 v[115:116], v[104:105], v[76:77]
	v_add_f64_e64 v[121:122], v[104:105], -v[76:77]
	v_add_f64_e64 v[127:128], v[110:111], -v[82:83]
	v_add_f64_e32 v[119:120], v[82:83], v[110:111]
	s_wait_alu 0xfffe
	s_mov_b32 s24, s20
	v_add_f64_e32 v[123:124], v[80:81], v[108:109]
	v_add_f64_e64 v[131:132], v[108:109], -v[80:81]
	v_add_f64_e32 v[125:126], v[86:87], v[102:103]
	v_add_f64_e64 v[133:134], v[102:103], -v[86:87]
	s_mov_b32 s28, 0x8764f0ba
	s_mov_b32 s36, 0xf8bb580b
	;; [unrolled: 1-line block ×6, first 2 shown]
	v_add_f64_e32 v[129:130], v[84:85], v[100:101]
	v_mul_f64_e32 v[169:170], s[20:21], v[145:146]
	v_mul_f64_e32 v[171:172], s[2:3], v[149:150]
	;; [unrolled: 1-line block ×4, first 2 shown]
	v_add_f64_e64 v[137:138], v[100:101], -v[84:85]
	v_add_f64_e32 v[135:136], v[94:95], v[90:91]
	v_add_f64_e64 v[151:152], v[94:95], -v[90:91]
	s_mov_b32 s35, 0x3fe14ced
	s_wait_alu 0xfffe
	s_mov_b32 s34, s36
	global_wb scope:SCOPE_SE
	s_barrier_signal -1
	s_barrier_wait -1
	v_mul_f64_e32 v[143:144], s[22:23], v[117:118]
	v_mul_f64_e32 v[147:148], s[14:15], v[113:114]
	;; [unrolled: 1-line block ×4, first 2 shown]
	global_inv scope:SCOPE_SE
	v_mul_f64_e32 v[157:158], s[26:27], v[127:128]
	v_mul_f64_e32 v[163:164], s[16:17], v[119:120]
	;; [unrolled: 1-line block ×8, first 2 shown]
	v_fma_f64 v[68:69], v[141:142], s[2:3], -v[169:170]
	v_fma_f64 v[70:71], v[153:154], s[20:21], v[171:172]
	v_fma_f64 v[72:73], v[141:142], s[10:11], -v[173:174]
	v_fma_f64 v[74:75], v[153:154], s[18:19], v[177:178]
	v_mul_f64_e32 v[191:192], s[14:15], v[135:136]
	v_mul_f64_e32 v[189:190], s[22:23], v[151:152]
	v_fma_f64 v[139:140], v[115:116], s[14:15], -v[143:144]
	v_fma_f64 v[159:160], v[121:122], s[22:23], v[147:148]
	v_fma_f64 v[181:182], v[115:116], s[16:17], -v[155:156]
	v_fma_f64 v[183:184], v[121:122], s[26:27], v[161:162]
	v_fma_f64 v[198:199], v[123:124], s[16:17], -v[157:158]
	v_fma_f64 v[200:201], v[131:132], s[26:27], v[163:164]
	v_fma_f64 v[202:203], v[123:124], s[2:3], -v[165:166]
	v_fma_f64 v[204:205], v[131:132], s[24:25], v[167:168]
	v_fma_f64 v[208:209], v[137:138], s[30:31], v[179:180]
	v_fma_f64 v[206:207], v[129:130], s[10:11], -v[175:176]
	v_fma_f64 v[210:211], v[129:130], s[28:29], -v[185:186]
	v_fma_f64 v[212:213], v[137:138], s[36:37], v[187:188]
	v_add_f64_e32 v[68:69], v[64:65], v[68:69]
	v_add_f64_e32 v[70:71], v[66:67], v[70:71]
	;; [unrolled: 1-line block ×4, first 2 shown]
	s_delay_alu instid0(VALU_DEP_4) | instskip(NEXT) | instid1(VALU_DEP_4)
	v_add_f64_e32 v[68:69], v[139:140], v[68:69]
	v_add_f64_e32 v[70:71], v[159:160], v[70:71]
	s_delay_alu instid0(VALU_DEP_4) | instskip(NEXT) | instid1(VALU_DEP_4)
	v_add_f64_e32 v[72:73], v[181:182], v[72:73]
	v_add_f64_e32 v[74:75], v[183:184], v[74:75]
	;; [unrolled: 1-line block ×3, first 2 shown]
	v_add_f64_e64 v[159:160], v[92:93], -v[88:89]
	s_wait_alu 0xfffe
	v_mul_f64_e32 v[181:182], s[34:35], v[151:152]
	v_mul_f64_e32 v[183:184], s[28:29], v[135:136]
	v_add_f64_e32 v[68:69], v[198:199], v[68:69]
	v_add_f64_e32 v[70:71], v[200:201], v[70:71]
	;; [unrolled: 1-line block ×4, first 2 shown]
	v_fma_f64 v[202:203], v[139:140], s[14:15], -v[189:190]
	v_fma_f64 v[204:205], v[159:160], s[22:23], v[191:192]
	v_fma_f64 v[198:199], v[139:140], s[28:29], -v[181:182]
	v_fma_f64 v[200:201], v[159:160], s[34:35], v[183:184]
	v_add_f64_e32 v[68:69], v[206:207], v[68:69]
	v_add_f64_e32 v[70:71], v[208:209], v[70:71]
	;; [unrolled: 1-line block ×4, first 2 shown]
	s_delay_alu instid0(VALU_DEP_4) | instskip(NEXT) | instid1(VALU_DEP_4)
	v_add_f64_e32 v[72:73], v[198:199], v[68:69]
	v_add_f64_e32 v[74:75], v[200:201], v[70:71]
	s_delay_alu instid0(VALU_DEP_4) | instskip(NEXT) | instid1(VALU_DEP_4)
	v_add_f64_e32 v[68:69], v[202:203], v[206:207]
	v_add_f64_e32 v[70:71], v[204:205], v[208:209]
	s_and_saveexec_b32 s1, vcc_lo
	s_cbranch_execz .LBB0_17
; %bb.16:
	v_add_f64_e32 v[96:97], v[64:65], v[96:97]
	v_add_f64_e32 v[98:99], v[66:67], v[98:99]
	s_delay_alu instid0(VALU_DEP_2) | instskip(NEXT) | instid1(VALU_DEP_2)
	v_add_f64_e32 v[96:97], v[104:105], v[96:97]
	v_add_f64_e32 v[98:99], v[106:107], v[98:99]
	s_delay_alu instid0(VALU_DEP_2) | instskip(NEXT) | instid1(VALU_DEP_2)
	;; [unrolled: 3-line block ×3, first 2 shown]
	v_add_f64_e32 v[96:97], v[100:101], v[96:97]
	v_add_f64_e32 v[98:99], v[102:103], v[98:99]
	v_mul_f64_e32 v[100:101], s[22:23], v[145:146]
	v_mul_f64_e32 v[102:103], s[36:37], v[145:146]
	s_delay_alu instid0(VALU_DEP_4) | instskip(NEXT) | instid1(VALU_DEP_4)
	v_add_f64_e32 v[92:93], v[92:93], v[96:97]
	v_add_f64_e32 v[94:95], v[94:95], v[98:99]
	s_delay_alu instid0(VALU_DEP_4)
	v_fma_f64 v[106:107], v[141:142], s[14:15], -v[100:101]
	v_fma_f64 v[100:101], v[141:142], s[14:15], v[100:101]
	v_fma_f64 v[108:109], v[141:142], s[28:29], v[102:103]
	v_fma_f64 v[102:103], v[141:142], s[28:29], -v[102:103]
	v_add_f64_e32 v[88:89], v[88:89], v[92:93]
	v_add_f64_e32 v[90:91], v[90:91], v[94:95]
	;; [unrolled: 1-line block ×7, first 2 shown]
	v_mul_f64_e32 v[88:89], s[22:23], v[153:154]
	v_mul_f64_e32 v[90:91], s[36:37], v[153:154]
	s_delay_alu instid0(VALU_DEP_4) | instskip(NEXT) | instid1(VALU_DEP_4)
	v_add_f64_e32 v[80:81], v[80:81], v[84:85]
	v_add_f64_e32 v[82:83], v[82:83], v[86:87]
	v_mul_f64_e32 v[84:85], s[26:27], v[121:122]
	v_mul_f64_e32 v[86:87], s[26:27], v[131:132]
	s_mov_b32 s27, 0xbfd207e7
	v_fma_f64 v[94:95], v[149:150], s[14:15], v[88:89]
	s_wait_alu 0xfffe
	v_mul_f64_e32 v[104:105], s[26:27], v[145:146]
	v_mul_f64_e32 v[92:93], s[26:27], v[153:154]
	v_fma_f64 v[96:97], v[149:150], s[28:29], v[90:91]
	v_fma_f64 v[88:89], v[149:150], s[14:15], -v[88:89]
	v_fma_f64 v[90:91], v[149:150], s[28:29], -v[90:91]
	v_add_f64_e32 v[76:77], v[76:77], v[80:81]
	v_add_f64_e32 v[78:79], v[78:79], v[82:83]
	v_mul_f64_e32 v[80:81], s[20:21], v[153:154]
	v_mul_f64_e32 v[82:83], s[2:3], v[141:142]
	v_add_f64_e64 v[86:87], v[163:164], -v[86:87]
	v_add_f64_e32 v[94:95], v[66:67], v[94:95]
	v_fma_f64 v[110:111], v[141:142], s[16:17], v[104:105]
	v_fma_f64 v[104:105], v[141:142], s[16:17], -v[104:105]
	v_fma_f64 v[98:99], v[149:150], s[16:17], v[92:93]
	v_fma_f64 v[92:93], v[149:150], s[16:17], -v[92:93]
	v_add_f64_e32 v[88:89], v[66:67], v[88:89]
	v_add_f64_e32 v[90:91], v[66:67], v[90:91]
	;; [unrolled: 1-line block ×3, first 2 shown]
	v_mul_f64_e32 v[76:77], s[18:19], v[153:154]
	v_add_f64_e32 v[2:3], v[2:3], v[78:79]
	v_mul_f64_e32 v[78:79], s[10:11], v[141:142]
	v_add_f64_e64 v[80:81], v[171:172], -v[80:81]
	v_add_f64_e32 v[82:83], v[82:83], v[169:170]
	v_add_f64_e32 v[169:170], v[66:67], v[96:97]
	v_add_f64_e32 v[96:97], v[64:65], v[108:109]
	v_add_f64_e32 v[108:109], v[64:65], v[110:111]
	v_add_f64_e32 v[104:105], v[64:65], v[104:105]
	v_add_f64_e32 v[98:99], v[66:67], v[98:99]
	v_add_f64_e32 v[92:93], v[66:67], v[92:93]
	v_mul_f64_e32 v[171:172], s[24:25], v[159:160]
	v_add_f64_e64 v[76:77], v[177:178], -v[76:77]
	v_add_f64_e32 v[78:79], v[78:79], v[173:174]
	v_add_f64_e32 v[149:150], v[66:67], v[80:81]
	;; [unrolled: 1-line block ×3, first 2 shown]
	v_mul_f64_e32 v[80:81], s[36:37], v[131:132]
	v_mul_f64_e32 v[173:174], s[24:25], v[151:152]
	v_add_f64_e32 v[141:142], v[66:67], v[76:77]
	v_mul_f64_e32 v[76:77], s[30:31], v[121:122]
	v_add_f64_e32 v[145:146], v[64:65], v[78:79]
	v_mul_f64_e32 v[78:79], s[30:31], v[117:118]
	v_fma_f64 v[82:83], v[119:120], s[28:29], v[80:81]
	v_fma_f64 v[80:81], v[119:120], s[28:29], -v[80:81]
	v_fma_f64 v[64:65], v[113:114], s[10:11], v[76:77]
	v_fma_f64 v[76:77], v[113:114], s[10:11], -v[76:77]
	v_fma_f64 v[66:67], v[115:116], s[10:11], -v[78:79]
	v_fma_f64 v[78:79], v[115:116], s[10:11], v[78:79]
	s_delay_alu instid0(VALU_DEP_4) | instskip(NEXT) | instid1(VALU_DEP_4)
	v_add_f64_e32 v[64:65], v[64:65], v[94:95]
	v_add_f64_e32 v[76:77], v[76:77], v[88:89]
	s_delay_alu instid0(VALU_DEP_4) | instskip(NEXT) | instid1(VALU_DEP_4)
	v_add_f64_e32 v[66:67], v[66:67], v[106:107]
	v_add_f64_e32 v[78:79], v[78:79], v[100:101]
	v_mul_f64_e32 v[88:89], s[2:3], v[123:124]
	v_mul_f64_e32 v[100:101], s[28:29], v[129:130]
	v_add_f64_e32 v[64:65], v[82:83], v[64:65]
	v_mul_f64_e32 v[82:83], s[36:37], v[127:128]
	v_add_f64_e32 v[76:77], v[80:81], v[76:77]
	v_add_f64_e32 v[88:89], v[88:89], v[165:166]
	;; [unrolled: 1-line block ×3, first 2 shown]
	s_delay_alu instid0(VALU_DEP_4) | instskip(SKIP_2) | instid1(VALU_DEP_3)
	v_fma_f64 v[94:95], v[123:124], s[28:29], -v[82:83]
	v_fma_f64 v[80:81], v[123:124], s[28:29], v[82:83]
	v_fma_f64 v[82:83], v[139:140], s[2:3], v[173:174]
	v_add_f64_e32 v[66:67], v[94:95], v[66:67]
	v_mul_f64_e32 v[94:95], s[26:27], v[137:138]
	s_delay_alu instid0(VALU_DEP_4) | instskip(NEXT) | instid1(VALU_DEP_2)
	v_add_f64_e32 v[78:79], v[80:81], v[78:79]
	v_fma_f64 v[106:107], v[125:126], s[16:17], v[94:95]
	v_fma_f64 v[80:81], v[125:126], s[16:17], -v[94:95]
	v_mul_f64_e32 v[94:95], s[36:37], v[137:138]
	s_delay_alu instid0(VALU_DEP_3) | instskip(SKIP_1) | instid1(VALU_DEP_4)
	v_add_f64_e32 v[64:65], v[106:107], v[64:65]
	v_mul_f64_e32 v[106:107], s[26:27], v[133:134]
	v_add_f64_e32 v[76:77], v[80:81], v[76:77]
	s_delay_alu instid0(VALU_DEP_4) | instskip(NEXT) | instid1(VALU_DEP_3)
	v_add_f64_e64 v[94:95], v[187:188], -v[94:95]
	v_fma_f64 v[80:81], v[129:130], s[16:17], v[106:107]
	v_fma_f64 v[110:111], v[129:130], s[16:17], -v[106:107]
	v_mul_f64_e32 v[106:107], s[22:23], v[159:160]
	s_delay_alu instid0(VALU_DEP_3) | instskip(SKIP_1) | instid1(VALU_DEP_3)
	v_add_f64_e32 v[80:81], v[80:81], v[78:79]
	v_fma_f64 v[78:79], v[135:136], s[2:3], -v[171:172]
	v_add_f64_e64 v[106:107], v[191:192], -v[106:107]
	v_add_f64_e32 v[110:111], v[110:111], v[66:67]
	v_fma_f64 v[66:67], v[135:136], s[2:3], v[171:172]
	s_delay_alu instid0(VALU_DEP_4)
	v_add_f64_e32 v[78:79], v[78:79], v[76:77]
	v_add_f64_e32 v[76:77], v[82:83], v[80:81]
	v_mul_f64_e32 v[82:83], s[16:17], v[115:116]
	v_add_f64_e64 v[80:81], v[161:162], -v[84:85]
	v_mul_f64_e32 v[84:85], s[24:25], v[131:132]
	v_add_f64_e32 v[66:67], v[66:67], v[64:65]
	v_fma_f64 v[64:65], v[139:140], s[2:3], -v[173:174]
	v_add_f64_e32 v[82:83], v[82:83], v[155:156]
	v_add_f64_e32 v[80:81], v[80:81], v[141:142]
	v_add_f64_e64 v[84:85], v[167:168], -v[84:85]
	v_mul_f64_e32 v[141:142], s[18:19], v[127:128]
	v_add_f64_e32 v[64:65], v[64:65], v[110:111]
	v_mul_f64_e32 v[110:111], s[34:35], v[159:160]
	v_add_f64_e32 v[82:83], v[82:83], v[145:146]
	;; [unrolled: 2-line block ×3, first 2 shown]
	v_mul_f64_e32 v[84:85], s[14:15], v[139:140]
	v_add_f64_e64 v[110:111], v[183:184], -v[110:111]
	v_add_f64_e32 v[82:83], v[88:89], v[82:83]
	s_delay_alu instid0(VALU_DEP_4) | instskip(NEXT) | instid1(VALU_DEP_4)
	v_add_f64_e32 v[80:81], v[94:95], v[80:81]
	v_add_f64_e32 v[84:85], v[84:85], v[189:190]
	v_mul_f64_e32 v[94:95], s[16:17], v[123:124]
	s_delay_alu instid0(VALU_DEP_4)
	v_add_f64_e32 v[88:89], v[100:101], v[82:83]
	v_mul_f64_e32 v[100:101], s[30:31], v[137:138]
	v_add_f64_e32 v[82:83], v[106:107], v[80:81]
	v_mul_f64_e32 v[106:107], s[10:11], v[129:130]
	v_add_f64_e32 v[94:95], v[94:95], v[157:158]
	v_add_f64_e32 v[80:81], v[84:85], v[88:89]
	v_mul_f64_e32 v[84:85], s[22:23], v[121:122]
	v_mul_f64_e32 v[88:89], s[14:15], v[115:116]
	v_add_f64_e64 v[100:101], v[179:180], -v[100:101]
	v_add_f64_e32 v[106:107], v[106:107], v[175:176]
	s_delay_alu instid0(VALU_DEP_4) | instskip(NEXT) | instid1(VALU_DEP_4)
	v_add_f64_e64 v[84:85], v[147:148], -v[84:85]
	v_add_f64_e32 v[88:89], v[88:89], v[143:144]
	v_mul_f64_e32 v[143:144], s[22:23], v[137:138]
	v_mul_f64_e32 v[147:148], s[26:27], v[159:160]
	s_delay_alu instid0(VALU_DEP_4) | instskip(NEXT) | instid1(VALU_DEP_4)
	v_add_f64_e32 v[84:85], v[84:85], v[149:150]
	v_add_f64_e32 v[88:89], v[88:89], v[153:154]
	v_mul_f64_e32 v[149:150], s[26:27], v[151:152]
	v_mul_f64_e32 v[151:152], s[18:19], v[151:152]
	s_delay_alu instid0(VALU_DEP_4) | instskip(NEXT) | instid1(VALU_DEP_4)
	v_add_f64_e32 v[84:85], v[86:87], v[84:85]
	v_add_f64_e32 v[86:87], v[94:95], v[88:89]
	v_mul_f64_e32 v[88:89], s[28:29], v[139:140]
	s_delay_alu instid0(VALU_DEP_3) | instskip(NEXT) | instid1(VALU_DEP_3)
	v_add_f64_e32 v[84:85], v[100:101], v[84:85]
	v_add_f64_e32 v[94:95], v[106:107], v[86:87]
	s_delay_alu instid0(VALU_DEP_3)
	v_add_f64_e32 v[88:89], v[88:89], v[181:182]
	v_mul_f64_e32 v[100:101], s[20:21], v[121:122]
	v_mul_f64_e32 v[106:107], s[20:21], v[117:118]
	;; [unrolled: 1-line block ×3, first 2 shown]
	v_add_f64_e32 v[86:87], v[110:111], v[84:85]
	v_mul_f64_e32 v[110:111], s[18:19], v[131:132]
	v_add_f64_e32 v[84:85], v[88:89], v[94:95]
	v_fma_f64 v[88:89], v[113:114], s[2:3], -v[100:101]
	v_fma_f64 v[100:101], v[113:114], s[2:3], v[100:101]
	s_delay_alu instid0(VALU_DEP_4) | instskip(NEXT) | instid1(VALU_DEP_3)
	v_fma_f64 v[94:95], v[119:120], s[10:11], -v[110:111]
	v_add_f64_e32 v[88:89], v[88:89], v[90:91]
	v_fma_f64 v[90:91], v[115:116], s[2:3], v[106:107]
	s_delay_alu instid0(VALU_DEP_4) | instskip(NEXT) | instid1(VALU_DEP_3)
	v_add_f64_e32 v[100:101], v[100:101], v[169:170]
	v_add_f64_e32 v[88:89], v[94:95], v[88:89]
	s_delay_alu instid0(VALU_DEP_3) | instskip(SKIP_2) | instid1(VALU_DEP_2)
	v_add_f64_e32 v[90:91], v[90:91], v[96:97]
	v_fma_f64 v[94:95], v[123:124], s[10:11], v[141:142]
	v_mul_f64_e32 v[96:97], s[34:35], v[121:122]
	v_add_f64_e32 v[90:91], v[94:95], v[90:91]
	v_fma_f64 v[94:95], v[125:126], s[14:15], -v[143:144]
	s_delay_alu instid0(VALU_DEP_1) | instskip(SKIP_1) | instid1(VALU_DEP_1)
	v_add_f64_e32 v[88:89], v[94:95], v[88:89]
	v_fma_f64 v[94:95], v[129:130], s[14:15], v[145:146]
	v_add_f64_e32 v[94:95], v[94:95], v[90:91]
	v_fma_f64 v[90:91], v[135:136], s[16:17], -v[147:148]
	s_delay_alu instid0(VALU_DEP_1) | instskip(SKIP_1) | instid1(VALU_DEP_1)
	v_add_f64_e32 v[90:91], v[90:91], v[88:89]
	v_fma_f64 v[88:89], v[139:140], s[16:17], v[149:150]
	v_add_f64_e32 v[88:89], v[88:89], v[94:95]
	v_fma_f64 v[94:95], v[113:114], s[28:29], -v[96:97]
	v_fma_f64 v[96:97], v[113:114], s[28:29], v[96:97]
	s_delay_alu instid0(VALU_DEP_2) | instskip(SKIP_1) | instid1(VALU_DEP_3)
	v_add_f64_e32 v[92:93], v[94:95], v[92:93]
	v_fma_f64 v[94:95], v[115:116], s[28:29], v[117:118]
	v_add_f64_e32 v[96:97], v[96:97], v[98:99]
	v_fma_f64 v[98:99], v[115:116], s[28:29], -v[117:118]
	s_delay_alu instid0(VALU_DEP_3) | instskip(SKIP_1) | instid1(VALU_DEP_3)
	v_add_f64_e32 v[94:95], v[94:95], v[108:109]
	v_mul_f64_e32 v[108:109], s[22:23], v[131:132]
	v_add_f64_e32 v[98:99], v[98:99], v[104:105]
	s_delay_alu instid0(VALU_DEP_2) | instskip(SKIP_2) | instid1(VALU_DEP_3)
	v_fma_f64 v[121:122], v[119:120], s[14:15], -v[108:109]
	v_fma_f64 v[104:105], v[119:120], s[14:15], v[108:109]
	v_fma_f64 v[108:109], v[139:140], s[10:11], -v[151:152]
	v_add_f64_e32 v[92:93], v[121:122], v[92:93]
	v_mul_f64_e32 v[121:122], s[22:23], v[127:128]
	s_delay_alu instid0(VALU_DEP_4) | instskip(NEXT) | instid1(VALU_DEP_2)
	v_add_f64_e32 v[96:97], v[104:105], v[96:97]
	v_fma_f64 v[127:128], v[123:124], s[14:15], v[121:122]
	v_fma_f64 v[104:105], v[123:124], s[14:15], -v[121:122]
	s_delay_alu instid0(VALU_DEP_2) | instskip(SKIP_1) | instid1(VALU_DEP_3)
	v_add_f64_e32 v[94:95], v[127:128], v[94:95]
	v_mul_f64_e32 v[127:128], s[24:25], v[137:138]
	v_add_f64_e32 v[98:99], v[104:105], v[98:99]
	v_mul_f64_e32 v[137:138], s[18:19], v[159:160]
	s_delay_alu instid0(VALU_DEP_3) | instskip(SKIP_1) | instid1(VALU_DEP_2)
	v_fma_f64 v[131:132], v[125:126], s[2:3], -v[127:128]
	v_fma_f64 v[104:105], v[125:126], s[2:3], v[127:128]
	v_add_f64_e32 v[92:93], v[131:132], v[92:93]
	v_mul_f64_e32 v[131:132], s[24:25], v[133:134]
	s_delay_alu instid0(VALU_DEP_3) | instskip(NEXT) | instid1(VALU_DEP_2)
	v_add_f64_e32 v[96:97], v[104:105], v[96:97]
	v_fma_f64 v[104:105], v[129:130], s[2:3], -v[131:132]
	v_fma_f64 v[133:134], v[129:130], s[2:3], v[131:132]
	s_delay_alu instid0(VALU_DEP_2) | instskip(SKIP_1) | instid1(VALU_DEP_3)
	v_add_f64_e32 v[104:105], v[104:105], v[98:99]
	v_fma_f64 v[98:99], v[135:136], s[10:11], v[137:138]
	v_add_f64_e32 v[133:134], v[133:134], v[94:95]
	v_fma_f64 v[94:95], v[135:136], s[10:11], -v[137:138]
	s_delay_alu instid0(VALU_DEP_3)
	v_add_f64_e32 v[98:99], v[98:99], v[96:97]
	v_add_f64_e32 v[96:97], v[108:109], v[104:105]
	v_fma_f64 v[104:105], v[115:116], s[2:3], -v[106:107]
	v_fma_f64 v[106:107], v[119:120], s[10:11], v[110:111]
	v_fma_f64 v[108:109], v[123:124], s[10:11], -v[141:142]
	v_fma_f64 v[110:111], v[129:130], s[14:15], -v[145:146]
	v_add_f64_e32 v[94:95], v[94:95], v[92:93]
	v_fma_f64 v[92:93], v[139:140], s[10:11], v[151:152]
	v_add_f64_e32 v[102:103], v[104:105], v[102:103]
	v_fma_f64 v[104:105], v[125:126], s[14:15], v[143:144]
	;; [unrolled: 2-line block ×3, first 2 shown]
	v_add_f64_e32 v[92:93], v[92:93], v[133:134]
	v_add_f64_e32 v[102:103], v[108:109], v[102:103]
	v_fma_f64 v[108:109], v[139:140], s[16:17], -v[149:150]
	v_add_f64_e32 v[100:101], v[104:105], v[100:101]
	s_delay_alu instid0(VALU_DEP_3) | instskip(NEXT) | instid1(VALU_DEP_2)
	v_add_f64_e32 v[104:105], v[110:111], v[102:103]
	v_add_f64_e32 v[102:103], v[106:107], v[100:101]
	s_delay_alu instid0(VALU_DEP_2) | instskip(SKIP_1) | instid1(VALU_DEP_1)
	v_add_f64_e32 v[100:101], v[108:109], v[104:105]
	v_and_b32_e32 v104, 0xffff, v196
	v_lshlrev_b32_e32 v104, 4, v104
	ds_store_b128 v104, v[84:87] offset:32
	ds_store_b128 v104, v[80:83] offset:48
	;; [unrolled: 1-line block ×9, first 2 shown]
	ds_store_b128 v104, v[0:3]
	ds_store_b128 v104, v[100:103] offset:160
.LBB0_17:
	s_wait_alu 0xfffe
	s_or_b32 exec_lo, exec_lo, s1
	global_wb scope:SCOPE_SE
	s_wait_dscnt 0x0
	s_barrier_signal -1
	s_barrier_wait -1
	global_inv scope:SCOPE_SE
	ds_load_b128 v[0:3], v194 offset:880
	ds_load_b128 v[64:67], v194 offset:1760
	;; [unrolled: 1-line block ×7, first 2 shown]
	s_mov_b32 s2, 0x667f3bcd
	s_mov_b32 s3, 0xbfe6a09e
	;; [unrolled: 1-line block ×3, first 2 shown]
	s_wait_alu 0xfffe
	s_mov_b32 s10, s2
	s_wait_dscnt 0x6
	v_mul_f64_e32 v[96:97], v[30:31], v[2:3]
	v_mul_f64_e32 v[30:31], v[30:31], v[0:1]
	s_wait_dscnt 0x5
	v_mul_f64_e32 v[98:99], v[26:27], v[66:67]
	v_mul_f64_e32 v[26:27], v[26:27], v[64:65]
	s_wait_dscnt 0x4
	v_mul_f64_e32 v[100:101], v[22:23], v[78:79]
	v_mul_f64_e32 v[22:23], v[22:23], v[76:77]
	s_wait_dscnt 0x3
	v_mul_f64_e32 v[102:103], v[34:35], v[82:83]
	v_mul_f64_e32 v[34:35], v[34:35], v[80:81]
	s_wait_dscnt 0x2
	v_mul_f64_e32 v[104:105], v[46:47], v[86:87]
	v_mul_f64_e32 v[46:47], v[46:47], v[84:85]
	s_wait_dscnt 0x1
	v_mul_f64_e32 v[106:107], v[42:43], v[90:91]
	v_mul_f64_e32 v[42:43], v[42:43], v[88:89]
	s_wait_dscnt 0x0
	v_mul_f64_e32 v[108:109], v[38:39], v[94:95]
	v_mul_f64_e32 v[38:39], v[38:39], v[92:93]
	v_fma_f64 v[96:97], v[28:29], v[0:1], v[96:97]
	v_fma_f64 v[28:29], v[28:29], v[2:3], -v[30:31]
	v_fma_f64 v[30:31], v[24:25], v[64:65], v[98:99]
	v_fma_f64 v[24:25], v[24:25], v[66:67], -v[26:27]
	;; [unrolled: 2-line block ×7, first 2 shown]
	ds_load_b128 v[0:3], v194
	global_wb scope:SCOPE_SE
	s_wait_dscnt 0x0
	s_barrier_signal -1
	s_barrier_wait -1
	global_inv scope:SCOPE_SE
	v_add_f64_e64 v[26:27], v[0:1], -v[26:27]
	v_add_f64_e64 v[20:21], v[2:3], -v[20:21]
	;; [unrolled: 1-line block ×8, first 2 shown]
	v_fma_f64 v[0:1], v[0:1], 2.0, -v[26:27]
	v_fma_f64 v[2:3], v[2:3], 2.0, -v[20:21]
	v_fma_f64 v[30:31], v[30:31], 2.0, -v[22:23]
	v_fma_f64 v[24:25], v[24:25], 2.0, -v[32:33]
	v_fma_f64 v[44:45], v[96:97], 2.0, -v[34:35]
	v_fma_f64 v[28:29], v[28:29], 2.0, -v[38:39]
	v_add_f64_e32 v[64:65], v[26:27], v[32:33]
	v_add_f64_e64 v[66:67], v[20:21], -v[22:23]
	v_fma_f64 v[22:23], v[46:47], 2.0, -v[42:43]
	v_fma_f64 v[32:33], v[40:41], 2.0, -v[36:37]
	v_add_f64_e32 v[36:37], v[34:35], v[36:37]
	v_add_f64_e64 v[40:41], v[38:39], -v[42:43]
	v_add_f64_e64 v[42:43], v[0:1], -v[30:31]
	;; [unrolled: 1-line block ×3, first 2 shown]
	v_fma_f64 v[76:77], v[26:27], 2.0, -v[64:65]
	v_fma_f64 v[78:79], v[20:21], 2.0, -v[66:67]
	v_add_f64_e64 v[22:23], v[44:45], -v[22:23]
	v_add_f64_e64 v[20:21], v[28:29], -v[32:33]
	v_fma_f64 v[32:33], v[34:35], 2.0, -v[36:37]
	v_fma_f64 v[34:35], v[38:39], 2.0, -v[40:41]
	s_wait_alu 0xfffe
	v_fma_f64 v[24:25], v[36:37], s[10:11], v[64:65]
	v_fma_f64 v[26:27], v[40:41], s[10:11], v[66:67]
	v_fma_f64 v[80:81], v[0:1], 2.0, -v[42:43]
	v_fma_f64 v[82:83], v[2:3], 2.0, -v[46:47]
	;; [unrolled: 1-line block ×4, first 2 shown]
	v_fma_f64 v[38:39], v[32:33], s[2:3], v[76:77]
	v_fma_f64 v[44:45], v[34:35], s[2:3], v[78:79]
	v_add_f64_e32 v[20:21], v[42:43], v[20:21]
	v_add_f64_e64 v[22:23], v[46:47], -v[22:23]
	v_fma_f64 v[24:25], v[40:41], s[10:11], v[24:25]
	v_fma_f64 v[26:27], v[36:37], s[2:3], v[26:27]
	v_add_f64_e64 v[28:29], v[80:81], -v[0:1]
	v_add_f64_e64 v[30:31], v[82:83], -v[2:3]
	v_fma_f64 v[0:1], v[34:35], s[10:11], v[38:39]
	v_fma_f64 v[2:3], v[32:33], s[2:3], v[44:45]
	v_fma_f64 v[32:33], v[42:43], 2.0, -v[20:21]
	v_fma_f64 v[34:35], v[46:47], 2.0, -v[22:23]
	;; [unrolled: 1-line block ×8, first 2 shown]
	ds_store_b128 v197, v[20:23] offset:1056
	ds_store_b128 v197, v[24:27] offset:1232
	;; [unrolled: 1-line block ×6, first 2 shown]
	ds_store_b128 v197, v[40:43]
	ds_store_b128 v197, v[44:47] offset:176
	global_wb scope:SCOPE_SE
	s_wait_dscnt 0x0
	s_barrier_signal -1
	s_barrier_wait -1
	global_inv scope:SCOPE_SE
	ds_load_b128 v[28:31], v194
	ds_load_b128 v[44:47], v194 offset:1408
	ds_load_b128 v[32:35], v194 offset:2816
	;; [unrolled: 1-line block ×4, first 2 shown]
	s_and_saveexec_b32 s1, s0
	s_cbranch_execz .LBB0_19
; %bb.18:
	ds_load_b128 v[0:3], v194 offset:880
	ds_load_b128 v[20:23], v194 offset:2288
	;; [unrolled: 1-line block ×5, first 2 shown]
.LBB0_19:
	s_wait_alu 0xfffe
	s_or_b32 exec_lo, exec_lo, s1
	s_wait_dscnt 0x3
	v_mul_f64_e32 v[64:65], v[62:63], v[46:47]
	s_wait_dscnt 0x2
	v_mul_f64_e32 v[66:67], v[54:55], v[34:35]
	;; [unrolled: 2-line block ×4, first 2 shown]
	v_mul_f64_e32 v[54:55], v[54:55], v[32:33]
	v_mul_f64_e32 v[50:51], v[50:51], v[36:37]
	;; [unrolled: 1-line block ×4, first 2 shown]
	s_mov_b32 s2, 0x134454ff
	s_mov_b32 s3, 0xbfee6f0e
	;; [unrolled: 1-line block ×3, first 2 shown]
	s_wait_alu 0xfffe
	s_mov_b32 s10, s2
	s_mov_b32 s16, 0x4755a5e
	;; [unrolled: 1-line block ×4, first 2 shown]
	s_wait_alu 0xfffe
	s_mov_b32 s14, s16
	s_mov_b32 s18, 0x372fe950
	;; [unrolled: 1-line block ×3, first 2 shown]
	v_fma_f64 v[44:45], v[60:61], v[44:45], v[64:65]
	v_fma_f64 v[32:33], v[52:53], v[32:33], v[66:67]
	;; [unrolled: 1-line block ×4, first 2 shown]
	v_fma_f64 v[34:35], v[52:53], v[34:35], -v[54:55]
	v_fma_f64 v[38:39], v[48:49], v[38:39], -v[50:51]
	v_fma_f64 v[46:47], v[60:61], v[46:47], -v[62:63]
	v_fma_f64 v[42:43], v[56:57], v[42:43], -v[58:59]
	v_add_f64_e32 v[56:57], v[28:29], v[44:45]
	v_add_f64_e32 v[48:49], v[32:33], v[36:37]
	;; [unrolled: 1-line block ×3, first 2 shown]
	v_add_f64_e64 v[64:65], v[44:45], -v[40:41]
	v_add_f64_e32 v[52:53], v[34:35], v[38:39]
	v_add_f64_e32 v[62:63], v[30:31], v[46:47]
	;; [unrolled: 1-line block ×3, first 2 shown]
	v_add_f64_e64 v[58:59], v[46:47], -v[42:43]
	v_add_f64_e64 v[60:61], v[34:35], -v[38:39]
	;; [unrolled: 1-line block ×8, first 2 shown]
	v_fma_f64 v[48:49], v[48:49], -0.5, v[28:29]
	v_fma_f64 v[28:29], v[50:51], -0.5, v[28:29]
	v_add_f64_e64 v[50:51], v[32:33], -v[36:37]
	v_fma_f64 v[52:53], v[52:53], -0.5, v[30:31]
	v_add_f64_e32 v[34:35], v[62:63], v[34:35]
	v_fma_f64 v[30:31], v[54:55], -0.5, v[30:31]
	v_add_f64_e64 v[54:55], v[44:45], -v[32:33]
	v_add_f64_e64 v[44:45], v[32:33], -v[44:45]
	v_add_f64_e32 v[32:33], v[56:57], v[32:33]
	v_add_f64_e32 v[46:47], v[46:47], v[82:83]
	v_fma_f64 v[56:57], v[58:59], s[2:3], v[48:49]
	v_fma_f64 v[48:49], v[58:59], s[10:11], v[48:49]
	;; [unrolled: 1-line block ×8, first 2 shown]
	v_add_f64_e32 v[32:33], v[32:33], v[36:37]
	v_add_f64_e32 v[34:35], v[34:35], v[38:39]
	;; [unrolled: 1-line block ×5, first 2 shown]
	v_fma_f64 v[36:37], v[60:61], s[16:17], v[56:57]
	s_wait_alu 0xfffe
	v_fma_f64 v[38:39], v[60:61], s[14:15], v[48:49]
	v_fma_f64 v[48:49], v[58:59], s[16:17], v[62:63]
	;; [unrolled: 1-line block ×7, first 2 shown]
	v_add_f64_e32 v[28:29], v[32:33], v[40:41]
	v_add_f64_e32 v[30:31], v[34:35], v[42:43]
	v_fma_f64 v[32:33], v[54:55], s[18:19], v[36:37]
	v_fma_f64 v[36:37], v[54:55], s[18:19], v[38:39]
	;; [unrolled: 1-line block ×8, first 2 shown]
	ds_store_b128 v194, v[28:31]
	ds_store_b128 v194, v[32:35] offset:1408
	ds_store_b128 v194, v[40:43] offset:2816
	;; [unrolled: 1-line block ×4, first 2 shown]
	s_and_saveexec_b32 s1, s0
	s_cbranch_execz .LBB0_21
; %bb.20:
	v_mul_f64_e32 v[28:29], v[18:19], v[24:25]
	v_mul_f64_e32 v[30:31], v[6:7], v[20:21]
	;; [unrolled: 1-line block ×8, first 2 shown]
	v_fma_f64 v[26:27], v[16:17], v[26:27], -v[28:29]
	v_fma_f64 v[22:23], v[4:5], v[22:23], -v[30:31]
	;; [unrolled: 1-line block ×4, first 2 shown]
	v_fma_f64 v[16:17], v[16:17], v[24:25], v[18:19]
	v_fma_f64 v[12:13], v[12:13], v[68:69], v[14:15]
	;; [unrolled: 1-line block ×4, first 2 shown]
	v_add_f64_e32 v[32:33], v[2:3], v[22:23]
	v_add_f64_e32 v[8:9], v[28:29], v[22:23]
	;; [unrolled: 1-line block ×3, first 2 shown]
	v_add_f64_e64 v[36:37], v[22:23], -v[28:29]
	v_add_f64_e32 v[14:15], v[16:17], v[12:13]
	v_add_f64_e32 v[34:35], v[0:1], v[4:5]
	;; [unrolled: 1-line block ×3, first 2 shown]
	v_add_f64_e64 v[20:21], v[16:17], -v[12:13]
	v_add_f64_e64 v[24:25], v[4:5], -v[6:7]
	;; [unrolled: 1-line block ×8, first 2 shown]
	v_fma_f64 v[8:9], v[8:9], -0.5, v[2:3]
	v_fma_f64 v[2:3], v[10:11], -0.5, v[2:3]
	v_add_f64_e64 v[10:11], v[26:27], -v[30:31]
	v_fma_f64 v[14:15], v[14:15], -0.5, v[0:1]
	v_add_f64_e32 v[16:17], v[16:17], v[34:35]
	v_fma_f64 v[0:1], v[18:19], -0.5, v[0:1]
	v_add_f64_e64 v[18:19], v[26:27], -v[22:23]
	v_add_f64_e64 v[22:23], v[22:23], -v[26:27]
	v_add_f64_e32 v[26:27], v[26:27], v[32:33]
	v_fma_f64 v[32:33], v[20:21], s[10:11], v[8:9]
	v_fma_f64 v[8:9], v[20:21], s[2:3], v[8:9]
	v_fma_f64 v[34:35], v[24:25], s[2:3], v[2:3]
	v_fma_f64 v[2:3], v[24:25], s[10:11], v[2:3]
	v_fma_f64 v[48:49], v[36:37], s[2:3], v[14:15]
	v_fma_f64 v[50:51], v[10:11], s[10:11], v[0:1]
	v_fma_f64 v[0:1], v[10:11], s[2:3], v[0:1]
	v_fma_f64 v[14:15], v[36:37], s[10:11], v[14:15]
	v_add_f64_e32 v[22:23], v[40:41], v[22:23]
	v_add_f64_e32 v[40:41], v[46:47], v[4:5]
	v_add_f64_e32 v[4:5], v[30:31], v[26:27]
	v_add_f64_e32 v[12:13], v[12:13], v[16:17]
	v_add_f64_e32 v[18:19], v[38:39], v[18:19]
	v_add_f64_e32 v[38:39], v[44:45], v[42:43]
	v_fma_f64 v[16:17], v[24:25], s[16:17], v[32:33]
	v_fma_f64 v[8:9], v[24:25], s[14:15], v[8:9]
	;; [unrolled: 1-line block ×8, first 2 shown]
	v_add_f64_e32 v[2:3], v[28:29], v[4:5]
	v_add_f64_e32 v[0:1], v[6:7], v[12:13]
	v_fma_f64 v[6:7], v[18:19], s[18:19], v[16:17]
	v_fma_f64 v[10:11], v[18:19], s[18:19], v[8:9]
	;; [unrolled: 1-line block ×8, first 2 shown]
	ds_store_b128 v194, v[0:3] offset:880
	ds_store_b128 v194, v[16:19] offset:2288
	;; [unrolled: 1-line block ×5, first 2 shown]
.LBB0_21:
	s_wait_alu 0xfffe
	s_or_b32 exec_lo, exec_lo, s1
	global_wb scope:SCOPE_SE
	s_wait_dscnt 0x0
	s_barrier_signal -1
	s_barrier_wait -1
	global_inv scope:SCOPE_SE
	s_and_b32 exec_lo, exec_lo, vcc_lo
	s_cbranch_execz .LBB0_23
; %bb.22:
	s_clause 0xa
	global_load_b128 v[0:3], v194, s[12:13]
	global_load_b128 v[4:7], v194, s[12:13] offset:640
	global_load_b128 v[8:11], v194, s[12:13] offset:1280
	;; [unrolled: 1-line block ×10, first 2 shown]
	v_mad_co_u64_u32 v[60:61], null, s6, v112, 0
	v_mad_co_u64_u32 v[76:77], null, s4, v195, 0
	s_mul_u64 s[0:1], s[4:5], 0x280
	s_mov_b32 s2, 0x29e4129e
	s_mov_b32 s3, 0x3f629e41
	s_delay_alu instid0(VALU_DEP_1) | instskip(NEXT) | instid1(VALU_DEP_1)
	v_dual_mov_b32 v44, v61 :: v_dual_mov_b32 v45, v77
	v_mad_co_u64_u32 v[52:53], null, s7, v112, v[44:45]
	v_mad_co_u64_u32 v[62:63], null, s5, v195, v[45:46]
	ds_load_b128 v[44:47], v194
	ds_load_b128 v[48:51], v194 offset:640
	v_mov_b32_e32 v61, v52
	ds_load_b128 v[52:55], v194 offset:1280
	ds_load_b128 v[56:59], v194 offset:1920
	v_mov_b32_e32 v77, v62
	v_lshlrev_b64_e32 v[78:79], 4, v[60:61]
	ds_load_b128 v[60:63], v194 offset:2560
	ds_load_b128 v[64:67], v194 offset:3200
	;; [unrolled: 1-line block ×4, first 2 shown]
	v_lshlrev_b64_e32 v[84:85], 4, v[76:77]
	v_add_co_u32 v122, vcc_lo, s8, v78
	v_add_co_ci_u32_e32 v123, vcc_lo, s9, v79, vcc_lo
	ds_load_b128 v[76:79], v194 offset:5120
	ds_load_b128 v[80:83], v194 offset:5760
	v_add_co_u32 v88, vcc_lo, v122, v84
	s_wait_alu 0xfffd
	v_add_co_ci_u32_e32 v89, vcc_lo, v123, v85, vcc_lo
	ds_load_b128 v[84:87], v194 offset:6400
	s_wait_alu 0xfffe
	v_add_co_u32 v90, vcc_lo, v88, s0
	s_wait_alu 0xfffd
	v_add_co_ci_u32_e32 v91, vcc_lo, s1, v89, vcc_lo
	s_delay_alu instid0(VALU_DEP_2) | instskip(SKIP_1) | instid1(VALU_DEP_2)
	v_add_co_u32 v114, vcc_lo, v90, s0
	s_wait_alu 0xfffd
	v_add_co_ci_u32_e32 v115, vcc_lo, s1, v91, vcc_lo
	s_delay_alu instid0(VALU_DEP_2) | instskip(SKIP_1) | instid1(VALU_DEP_2)
	;; [unrolled: 4-line block ×4, first 2 shown]
	v_add_co_u32 v120, vcc_lo, v118, s0
	s_wait_alu 0xfffd
	v_add_co_ci_u32_e32 v121, vcc_lo, s1, v119, vcc_lo
	s_wait_loadcnt_dscnt 0xa0a
	v_mul_f64_e32 v[92:93], v[46:47], v[2:3]
	v_mul_f64_e32 v[2:3], v[44:45], v[2:3]
	s_wait_loadcnt_dscnt 0x909
	v_mul_f64_e32 v[94:95], v[50:51], v[6:7]
	v_mul_f64_e32 v[6:7], v[48:49], v[6:7]
	;; [unrolled: 3-line block ×11, first 2 shown]
	v_fma_f64 v[44:45], v[44:45], v[0:1], v[92:93]
	v_fma_f64 v[2:3], v[0:1], v[46:47], -v[2:3]
	v_fma_f64 v[46:47], v[48:49], v[4:5], v[94:95]
	v_fma_f64 v[6:7], v[4:5], v[50:51], -v[6:7]
	;; [unrolled: 2-line block ×11, first 2 shown]
	v_add_co_u32 v68, vcc_lo, v120, s0
	s_wait_alu 0xfffd
	v_add_co_ci_u32_e32 v69, vcc_lo, s1, v121, vcc_lo
	v_mad_co_u64_u32 v[66:67], null, s4, v193, 0
	s_delay_alu instid0(VALU_DEP_3) | instskip(SKIP_1) | instid1(VALU_DEP_3)
	v_add_co_u32 v70, vcc_lo, v68, s0
	s_wait_alu 0xfffd
	v_add_co_ci_u32_e32 v71, vcc_lo, s1, v69, vcc_lo
	s_delay_alu instid0(VALU_DEP_1)
	v_mad_co_u64_u32 v[72:73], null, 0x500, s4, v[70:71]
	v_mul_f64_e32 v[0:1], s[2:3], v[44:45]
	v_mul_f64_e32 v[2:3], s[2:3], v[2:3]
	;; [unrolled: 1-line block ×22, first 2 shown]
	v_mad_co_u64_u32 v[44:45], null, s5, v193, v[67:68]
	v_mov_b32_e32 v45, v73
	s_delay_alu instid0(VALU_DEP_2) | instskip(NEXT) | instid1(VALU_DEP_2)
	v_mov_b32_e32 v67, v44
	v_mad_co_u64_u32 v[44:45], null, 0x500, s5, v[45:46]
	s_delay_alu instid0(VALU_DEP_2) | instskip(NEXT) | instid1(VALU_DEP_2)
	v_lshlrev_b64_e32 v[45:46], 4, v[66:67]
	v_mov_b32_e32 v73, v44
	s_delay_alu instid0(VALU_DEP_2) | instskip(SKIP_1) | instid1(VALU_DEP_3)
	v_add_co_u32 v44, vcc_lo, v122, v45
	s_wait_alu 0xfffd
	v_add_co_ci_u32_e32 v45, vcc_lo, v123, v46, vcc_lo
	v_add_co_u32 v46, vcc_lo, v72, s0
	s_wait_alu 0xfffd
	v_add_co_ci_u32_e32 v47, vcc_lo, s1, v73, vcc_lo
	s_clause 0x4
	global_store_b128 v[88:89], v[0:3], off
	global_store_b128 v[90:91], v[4:7], off
	;; [unrolled: 1-line block ×11, first 2 shown]
.LBB0_23:
	s_nop 0
	s_sendmsg sendmsg(MSG_DEALLOC_VGPRS)
	s_endpgm
	.section	.rodata,"a",@progbits
	.p2align	6, 0x0
	.amdhsa_kernel bluestein_single_fwd_len440_dim1_dp_op_CI_CI
		.amdhsa_group_segment_fixed_size 7040
		.amdhsa_private_segment_fixed_size 0
		.amdhsa_kernarg_size 104
		.amdhsa_user_sgpr_count 2
		.amdhsa_user_sgpr_dispatch_ptr 0
		.amdhsa_user_sgpr_queue_ptr 0
		.amdhsa_user_sgpr_kernarg_segment_ptr 1
		.amdhsa_user_sgpr_dispatch_id 0
		.amdhsa_user_sgpr_private_segment_size 0
		.amdhsa_wavefront_size32 1
		.amdhsa_uses_dynamic_stack 0
		.amdhsa_enable_private_segment 0
		.amdhsa_system_sgpr_workgroup_id_x 1
		.amdhsa_system_sgpr_workgroup_id_y 0
		.amdhsa_system_sgpr_workgroup_id_z 0
		.amdhsa_system_sgpr_workgroup_info 0
		.amdhsa_system_vgpr_workitem_id 0
		.amdhsa_next_free_vgpr 222
		.amdhsa_next_free_sgpr 40
		.amdhsa_reserve_vcc 1
		.amdhsa_float_round_mode_32 0
		.amdhsa_float_round_mode_16_64 0
		.amdhsa_float_denorm_mode_32 3
		.amdhsa_float_denorm_mode_16_64 3
		.amdhsa_fp16_overflow 0
		.amdhsa_workgroup_processor_mode 1
		.amdhsa_memory_ordered 1
		.amdhsa_forward_progress 0
		.amdhsa_round_robin_scheduling 0
		.amdhsa_exception_fp_ieee_invalid_op 0
		.amdhsa_exception_fp_denorm_src 0
		.amdhsa_exception_fp_ieee_div_zero 0
		.amdhsa_exception_fp_ieee_overflow 0
		.amdhsa_exception_fp_ieee_underflow 0
		.amdhsa_exception_fp_ieee_inexact 0
		.amdhsa_exception_int_div_zero 0
	.end_amdhsa_kernel
	.text
.Lfunc_end0:
	.size	bluestein_single_fwd_len440_dim1_dp_op_CI_CI, .Lfunc_end0-bluestein_single_fwd_len440_dim1_dp_op_CI_CI
                                        ; -- End function
	.section	.AMDGPU.csdata,"",@progbits
; Kernel info:
; codeLenInByte = 12320
; NumSgprs: 42
; NumVgprs: 222
; ScratchSize: 0
; MemoryBound: 0
; FloatMode: 240
; IeeeMode: 1
; LDSByteSize: 7040 bytes/workgroup (compile time only)
; SGPRBlocks: 5
; VGPRBlocks: 27
; NumSGPRsForWavesPerEU: 42
; NumVGPRsForWavesPerEU: 222
; Occupancy: 6
; WaveLimiterHint : 1
; COMPUTE_PGM_RSRC2:SCRATCH_EN: 0
; COMPUTE_PGM_RSRC2:USER_SGPR: 2
; COMPUTE_PGM_RSRC2:TRAP_HANDLER: 0
; COMPUTE_PGM_RSRC2:TGID_X_EN: 1
; COMPUTE_PGM_RSRC2:TGID_Y_EN: 0
; COMPUTE_PGM_RSRC2:TGID_Z_EN: 0
; COMPUTE_PGM_RSRC2:TIDIG_COMP_CNT: 0
	.text
	.p2alignl 7, 3214868480
	.fill 96, 4, 3214868480
	.type	__hip_cuid_12e7f9fb83ede1ba,@object ; @__hip_cuid_12e7f9fb83ede1ba
	.section	.bss,"aw",@nobits
	.globl	__hip_cuid_12e7f9fb83ede1ba
__hip_cuid_12e7f9fb83ede1ba:
	.byte	0                               ; 0x0
	.size	__hip_cuid_12e7f9fb83ede1ba, 1

	.ident	"AMD clang version 19.0.0git (https://github.com/RadeonOpenCompute/llvm-project roc-6.4.0 25133 c7fe45cf4b819c5991fe208aaa96edf142730f1d)"
	.section	".note.GNU-stack","",@progbits
	.addrsig
	.addrsig_sym __hip_cuid_12e7f9fb83ede1ba
	.amdgpu_metadata
---
amdhsa.kernels:
  - .args:
      - .actual_access:  read_only
        .address_space:  global
        .offset:         0
        .size:           8
        .value_kind:     global_buffer
      - .actual_access:  read_only
        .address_space:  global
        .offset:         8
        .size:           8
        .value_kind:     global_buffer
      - .actual_access:  read_only
        .address_space:  global
        .offset:         16
        .size:           8
        .value_kind:     global_buffer
      - .actual_access:  read_only
        .address_space:  global
        .offset:         24
        .size:           8
        .value_kind:     global_buffer
      - .actual_access:  read_only
        .address_space:  global
        .offset:         32
        .size:           8
        .value_kind:     global_buffer
      - .offset:         40
        .size:           8
        .value_kind:     by_value
      - .address_space:  global
        .offset:         48
        .size:           8
        .value_kind:     global_buffer
      - .address_space:  global
        .offset:         56
        .size:           8
        .value_kind:     global_buffer
      - .address_space:  global
        .offset:         64
        .size:           8
        .value_kind:     global_buffer
      - .address_space:  global
        .offset:         72
        .size:           8
        .value_kind:     global_buffer
      - .offset:         80
        .size:           4
        .value_kind:     by_value
      - .address_space:  global
        .offset:         88
        .size:           8
        .value_kind:     global_buffer
      - .address_space:  global
        .offset:         96
        .size:           8
        .value_kind:     global_buffer
    .group_segment_fixed_size: 7040
    .kernarg_segment_align: 8
    .kernarg_segment_size: 104
    .language:       OpenCL C
    .language_version:
      - 2
      - 0
    .max_flat_workgroup_size: 55
    .name:           bluestein_single_fwd_len440_dim1_dp_op_CI_CI
    .private_segment_fixed_size: 0
    .sgpr_count:     42
    .sgpr_spill_count: 0
    .symbol:         bluestein_single_fwd_len440_dim1_dp_op_CI_CI.kd
    .uniform_work_group_size: 1
    .uses_dynamic_stack: false
    .vgpr_count:     222
    .vgpr_spill_count: 0
    .wavefront_size: 32
    .workgroup_processor_mode: 1
amdhsa.target:   amdgcn-amd-amdhsa--gfx1201
amdhsa.version:
  - 1
  - 2
...

	.end_amdgpu_metadata
